;; amdgpu-corpus repo=ROCm/rocFFT kind=compiled arch=gfx1100 opt=O3
	.text
	.amdgcn_target "amdgcn-amd-amdhsa--gfx1100"
	.amdhsa_code_object_version 6
	.protected	bluestein_single_fwd_len1650_dim1_dp_op_CI_CI ; -- Begin function bluestein_single_fwd_len1650_dim1_dp_op_CI_CI
	.globl	bluestein_single_fwd_len1650_dim1_dp_op_CI_CI
	.p2align	8
	.type	bluestein_single_fwd_len1650_dim1_dp_op_CI_CI,@function
bluestein_single_fwd_len1650_dim1_dp_op_CI_CI: ; @bluestein_single_fwd_len1650_dim1_dp_op_CI_CI
; %bb.0:
	s_load_b128 s[16:19], s[0:1], 0x28
	v_mul_u32_u24_e32 v1, 0x254, v0
	s_mov_b32 s2, exec_lo
	v_mov_b32_e32 v7, 0
	s_delay_alu instid0(VALU_DEP_2) | instskip(NEXT) | instid1(VALU_DEP_1)
	v_lshrrev_b32_e32 v1, 16, v1
	v_add_nc_u32_e32 v6, s15, v1
	s_waitcnt lgkmcnt(0)
	s_delay_alu instid0(VALU_DEP_1)
	v_cmpx_gt_u64_e64 s[16:17], v[6:7]
	s_cbranch_execz .LBB0_23
; %bb.1:
	s_clause 0x1
	s_load_b128 s[4:7], s[0:1], 0x18
	s_load_b64 s[2:3], s[0:1], 0x0
	v_mul_lo_u16 v1, 0x6e, v1
	v_mov_b32_e32 v4, v6
	s_delay_alu instid0(VALU_DEP_2) | instskip(NEXT) | instid1(VALU_DEP_1)
	v_sub_nc_u16 v90, v0, v1
	v_and_b32_e32 v202, 0xffff, v90
	s_delay_alu instid0(VALU_DEP_1)
	v_lshlrev_b32_e32 v120, 4, v202
	s_waitcnt lgkmcnt(0)
	s_load_b128 s[8:11], s[4:5], 0x0
	s_clause 0x1
	global_load_b128 v[91:94], v120, s[2:3]
	global_load_b128 v[95:98], v120, s[2:3] offset:2400
	v_add_co_u32 v104, s4, s2, v120
	s_delay_alu instid0(VALU_DEP_1) | instskip(NEXT) | instid1(VALU_DEP_2)
	v_add_co_ci_u32_e64 v105, null, s3, 0, s4
	v_add_co_u32 v12, vcc_lo, 0x1000, v104
	s_delay_alu instid0(VALU_DEP_2)
	v_add_co_ci_u32_e32 v13, vcc_lo, 0, v105, vcc_lo
	v_add_co_u32 v10, vcc_lo, 0x2000, v104
	v_add_co_ci_u32_e32 v11, vcc_lo, 0, v105, vcc_lo
	v_add_co_u32 v8, vcc_lo, 0x3000, v104
	v_add_co_ci_u32_e32 v9, vcc_lo, 0, v105, vcc_lo
	s_waitcnt lgkmcnt(0)
	v_mad_u64_u32 v[0:1], null, s10, v6, 0
	v_mad_u64_u32 v[2:3], null, s8, v202, 0
	s_clause 0x3
	scratch_store_b64 off, v[4:5], off offset:120
	scratch_store_b64 off, v[12:13], off offset:112
	;; [unrolled: 1-line block ×4, first 2 shown]
	v_add_co_u32 v40, vcc_lo, 0x4000, v104
	v_mad_u64_u32 v[4:5], null, s11, v6, v[1:2]
	v_mov_b32_e32 v1, v3
	v_add_co_ci_u32_e32 v41, vcc_lo, 0, v105, vcc_lo
	v_add_co_u32 v42, vcc_lo, 0x5000, v104
	s_delay_alu instid0(VALU_DEP_3) | instskip(SKIP_4) | instid1(VALU_DEP_2)
	v_mad_u64_u32 v[5:6], null, s9, v202, v[1:2]
	v_mov_b32_e32 v1, v4
	v_add_co_ci_u32_e32 v43, vcc_lo, 0, v105, vcc_lo
	s_mul_i32 s3, s9, 0x96
	s_mul_hi_u32 s4, s8, 0x96
	v_lshlrev_b64 v[0:1], 4, v[0:1]
	s_delay_alu instid0(VALU_DEP_4)
	v_mov_b32_e32 v3, v5
	s_mul_i32 s2, s8, 0x96
	s_add_i32 s3, s4, s3
	s_clause 0x1
	global_load_b128 v[129:132], v[10:11], off offset:1408
	global_load_b128 v[121:124], v[10:11], off offset:3808
	v_lshlrev_b64 v[2:3], 4, v[2:3]
	v_add_co_u32 v0, vcc_lo, s18, v0
	v_add_co_ci_u32_e32 v1, vcc_lo, s19, v1, vcc_lo
	s_lshl_b64 s[12:13], s[2:3], 4
	s_delay_alu instid0(VALU_DEP_2) | instskip(NEXT) | instid1(VALU_DEP_2)
	v_add_co_u32 v0, vcc_lo, v0, v2
	v_add_co_ci_u32_e32 v1, vcc_lo, v1, v3, vcc_lo
	s_clause 0x1
	global_load_b128 v[133:136], v[12:13], off offset:704
	global_load_b128 v[125:128], v[12:13], off offset:3104
	v_add_co_u32 v6, vcc_lo, v0, s12
	v_add_co_ci_u32_e32 v7, vcc_lo, s13, v1, vcc_lo
	s_clause 0x1
	global_load_b128 v[106:109], v[8:9], off offset:2112
	global_load_b128 v[99:102], v[40:41], off offset:416
	v_add_co_u32 v10, vcc_lo, v6, s12
	v_add_co_ci_u32_e32 v11, vcc_lo, s13, v7, vcc_lo
	s_clause 0x1
	global_load_b128 v[2:5], v[0:1], off
	global_load_b128 v[6:9], v[6:7], off
	v_add_co_u32 v14, vcc_lo, v10, s12
	v_add_co_ci_u32_e32 v15, vcc_lo, s13, v11, vcc_lo
	s_delay_alu instid0(VALU_DEP_2) | instskip(NEXT) | instid1(VALU_DEP_2)
	v_add_co_u32 v0, vcc_lo, v14, s12
	v_add_co_ci_u32_e32 v1, vcc_lo, s13, v15, vcc_lo
	s_clause 0x1
	global_load_b128 v[10:13], v[10:11], off
	global_load_b128 v[14:17], v[14:15], off
	v_add_co_u32 v22, vcc_lo, v0, s12
	v_add_co_ci_u32_e32 v23, vcc_lo, s13, v1, vcc_lo
	global_load_b128 v[18:21], v[0:1], off
	v_add_co_u32 v0, vcc_lo, v22, s12
	v_add_co_ci_u32_e32 v1, vcc_lo, s13, v23, vcc_lo
	scratch_store_b64 off, v[40:41], off offset:88 ; 8-byte Folded Spill
	v_add_co_u32 v30, vcc_lo, v0, s12
	v_add_co_ci_u32_e32 v31, vcc_lo, s13, v1, vcc_lo
	global_load_b128 v[26:29], v[0:1], off
	v_add_co_u32 v0, vcc_lo, v30, s12
	v_add_co_ci_u32_e32 v1, vcc_lo, s13, v31, vcc_lo
	global_load_b128 v[30:33], v[30:31], off
	;; [unrolled: 3-line block ×4, first 2 shown]
	s_clause 0x1
	global_load_b128 v[137:140], v[40:41], off offset:2816
	global_load_b128 v[110:113], v[42:43], off offset:1120
	global_load_b128 v[38:41], v[38:39], off
	scratch_store_b64 off, v[42:43], off offset:80 ; 8-byte Folded Spill
	global_load_b128 v[114:117], v[42:43], off offset:3520
	global_load_b128 v[42:45], v[0:1], off
	v_cmp_gt_u16_e32 vcc_lo, 40, v90
	s_waitcnt vmcnt(21)
	scratch_store_b128 off, v[91:94], off offset:132 ; 16-byte Folded Spill
	s_waitcnt vmcnt(20)
	scratch_store_b128 off, v[95:98], off offset:148 ; 16-byte Folded Spill
	;; [unrolled: 2-line block ×8, first 2 shown]
	s_waitcnt vmcnt(13)
	v_mul_f64 v[46:47], v[4:5], v[93:94]
	v_mul_f64 v[48:49], v[2:3], v[93:94]
	s_waitcnt vmcnt(12)
	v_mul_f64 v[50:51], v[8:9], v[97:98]
	v_mul_f64 v[52:53], v[6:7], v[97:98]
	s_waitcnt vmcnt(11)
	v_mul_f64 v[54:55], v[12:13], v[135:136]
	v_mul_f64 v[56:57], v[10:11], v[135:136]
	s_waitcnt vmcnt(10)
	v_mul_f64 v[58:59], v[16:17], v[127:128]
	v_mul_f64 v[60:61], v[14:15], v[127:128]
	s_waitcnt vmcnt(9)
	v_mul_f64 v[62:63], v[20:21], v[131:132]
	v_mul_f64 v[64:65], v[18:19], v[131:132]
	s_waitcnt vmcnt(8)
	v_mul_f64 v[70:71], v[28:29], v[108:109]
	v_mul_f64 v[72:73], v[26:27], v[108:109]
	s_waitcnt vmcnt(7)
	v_mul_f64 v[74:75], v[32:33], v[101:102]
	v_mul_f64 v[76:77], v[30:31], v[101:102]
	v_fma_f64 v[2:3], v[2:3], v[91:92], v[46:47]
	v_fma_f64 v[4:5], v[4:5], v[91:92], -v[48:49]
	s_waitcnt vmcnt(4)
	v_mul_f64 v[78:79], v[36:37], v[139:140]
	v_mul_f64 v[80:81], v[34:35], v[139:140]
	s_waitcnt vmcnt(2)
	v_mul_f64 v[82:83], v[40:41], v[112:113]
	v_mul_f64 v[84:85], v[38:39], v[112:113]
	;; [unrolled: 3-line block ×3, first 2 shown]
	v_mul_f64 v[66:67], v[24:25], v[123:124]
	v_mul_f64 v[68:69], v[22:23], v[123:124]
	v_fma_f64 v[6:7], v[6:7], v[95:96], v[50:51]
	v_fma_f64 v[8:9], v[8:9], v[95:96], -v[52:53]
	v_fma_f64 v[10:11], v[10:11], v[133:134], v[54:55]
	v_fma_f64 v[12:13], v[12:13], v[133:134], -v[56:57]
	;; [unrolled: 2-line block ×4, first 2 shown]
	s_clause 0x2
	scratch_store_b128 off, v[137:140], off offset:292
	scratch_store_b128 off, v[110:113], off offset:196
	scratch_store_b128 off, v[114:117], off offset:212
	s_load_b64 s[10:11], s[0:1], 0x38
	s_load_b128 s[4:7], s[6:7], 0x0
	v_fma_f64 v[26:27], v[26:27], v[106:107], v[70:71]
	v_fma_f64 v[28:29], v[28:29], v[106:107], -v[72:73]
	v_fma_f64 v[30:31], v[30:31], v[99:100], v[74:75]
	v_fma_f64 v[32:33], v[32:33], v[99:100], -v[76:77]
	;; [unrolled: 2-line block ×6, first 2 shown]
	ds_store_b128 v120, v[2:5]
	ds_store_b128 v120, v[6:9] offset:2400
	ds_store_b128 v120, v[10:13] offset:4800
	;; [unrolled: 1-line block ×10, first 2 shown]
	s_and_saveexec_b32 s3, vcc_lo
	s_cbranch_execz .LBB0_3
; %bb.2:
	scratch_load_b64 v[8:9], off, off offset:112 ; 8-byte Folded Reload
	v_mad_u64_u32 v[32:33], null, 0xffffa920, s8, v[0:1]
	global_load_b128 v[0:3], v[104:105], off offset:1760
	s_mul_i32 s2, s9, 0xffffa920
	s_delay_alu instid0(SALU_CYCLE_1) | instskip(NEXT) | instid1(SALU_CYCLE_1)
	s_sub_i32 s2, s2, s8
	v_add_nc_u32_e32 v33, s2, v33
	v_add_co_u32 v36, s2, v32, s12
	s_delay_alu instid0(VALU_DEP_1) | instskip(NEXT) | instid1(VALU_DEP_2)
	v_add_co_ci_u32_e64 v37, s2, s13, v33, s2
	v_add_co_u32 v40, s2, v36, s12
	s_delay_alu instid0(VALU_DEP_1) | instskip(NEXT) | instid1(VALU_DEP_2)
	v_add_co_ci_u32_e64 v41, s2, s13, v37, s2
	v_add_co_u32 v44, s2, v40, s12
	s_delay_alu instid0(VALU_DEP_1) | instskip(NEXT) | instid1(VALU_DEP_2)
	v_add_co_ci_u32_e64 v45, s2, s13, v41, s2
	v_add_co_u32 v48, s2, v44, s12
	s_delay_alu instid0(VALU_DEP_1) | instskip(NEXT) | instid1(VALU_DEP_2)
	v_add_co_ci_u32_e64 v49, s2, s13, v45, s2
	v_add_co_u32 v52, s2, v48, s12
	s_delay_alu instid0(VALU_DEP_1) | instskip(NEXT) | instid1(VALU_DEP_2)
	v_add_co_ci_u32_e64 v53, s2, s13, v49, s2
	v_add_co_u32 v56, s2, v52, s12
	s_delay_alu instid0(VALU_DEP_1) | instskip(NEXT) | instid1(VALU_DEP_2)
	v_add_co_ci_u32_e64 v57, s2, s13, v53, s2
	v_add_co_u32 v60, s2, v56, s12
	s_delay_alu instid0(VALU_DEP_1) | instskip(NEXT) | instid1(VALU_DEP_2)
	v_add_co_ci_u32_e64 v61, s2, s13, v57, s2
	v_add_co_u32 v68, s2, v60, s12
	s_delay_alu instid0(VALU_DEP_1) | instskip(NEXT) | instid1(VALU_DEP_2)
	v_add_co_ci_u32_e64 v69, s2, s13, v61, s2
	v_add_co_u32 v72, s2, v68, s12
	s_delay_alu instid0(VALU_DEP_1) | instskip(SKIP_1) | instid1(VALU_DEP_1)
	v_add_co_ci_u32_e64 v73, s2, s13, v69, s2
	v_add_co_u32 v80, s2, 0x6000, v104
	v_add_co_ci_u32_e64 v81, s2, 0, v105, s2
	s_delay_alu instid0(VALU_DEP_4) | instskip(NEXT) | instid1(VALU_DEP_1)
	v_add_co_u32 v84, s2, v72, s12
	v_add_co_ci_u32_e64 v85, s2, s13, v73, s2
	s_waitcnt vmcnt(1)
	s_clause 0x1
	global_load_b128 v[4:7], v[8:9], off offset:64
	global_load_b128 v[8:11], v[8:9], off offset:2464
	scratch_load_b64 v[16:17], off, off offset:104 ; 8-byte Folded Reload
	s_waitcnt vmcnt(0)
	s_clause 0x1
	global_load_b128 v[12:15], v[16:17], off offset:768
	global_load_b128 v[16:19], v[16:17], off offset:3168
	scratch_load_b64 v[24:25], off, off offset:96 ; 8-byte Folded Reload
	;; [unrolled: 5-line block ×3, first 2 shown]
	global_load_b128 v[32:35], v[32:33], off
	global_load_b128 v[36:39], v[36:37], off
	;; [unrolled: 1-line block ×4, first 2 shown]
	s_waitcnt vmcnt(4)
	global_load_b128 v[28:31], v[28:29], off offset:2176
	global_load_b128 v[48:51], v[48:49], off
	global_load_b128 v[52:55], v[52:53], off
	global_load_b128 v[56:59], v[56:57], off
	global_load_b128 v[60:63], v[60:61], off
	global_load_b128 v[64:67], v[68:69], off
	scratch_load_b64 v[76:77], off, off offset:80 ; 8-byte Folded Reload
	s_waitcnt vmcnt(10)
	v_mul_f64 v[88:89], v[34:35], v[2:3]
	v_mul_f64 v[2:3], v[32:33], v[2:3]
	s_waitcnt vmcnt(9)
	v_mul_f64 v[90:91], v[38:39], v[6:7]
	v_mul_f64 v[6:7], v[36:37], v[6:7]
	;; [unrolled: 3-line block ×4, first 2 shown]
	s_waitcnt vmcnt(0)
	global_load_b128 v[68:71], v[76:77], off offset:480
	global_load_b128 v[72:75], v[72:73], off
	s_clause 0x1
	global_load_b128 v[76:79], v[76:77], off offset:2880
	global_load_b128 v[80:83], v[80:81], off offset:1184
	global_load_b128 v[84:87], v[84:85], off
	v_mul_f64 v[96:97], v[50:51], v[18:19]
	v_mul_f64 v[18:19], v[48:49], v[18:19]
	;; [unrolled: 1-line block ×8, first 2 shown]
	v_fma_f64 v[30:31], v[32:33], v[0:1], v[88:89]
	v_fma_f64 v[32:33], v[34:35], v[0:1], -v[2:3]
	v_fma_f64 v[0:1], v[36:37], v[4:5], v[90:91]
	v_fma_f64 v[2:3], v[38:39], v[4:5], -v[6:7]
	;; [unrolled: 2-line block ×8, first 2 shown]
	s_waitcnt vmcnt(4)
	v_mul_f64 v[108:109], v[66:67], v[70:71]
	v_mul_f64 v[70:71], v[64:65], v[70:71]
	s_waitcnt vmcnt(2)
	v_mul_f64 v[110:111], v[74:75], v[78:79]
	v_mul_f64 v[78:79], v[72:73], v[78:79]
	;; [unrolled: 3-line block ×3, first 2 shown]
	v_fma_f64 v[34:35], v[64:65], v[68:69], v[108:109]
	v_fma_f64 v[36:37], v[66:67], v[68:69], -v[70:71]
	v_fma_f64 v[38:39], v[72:73], v[76:77], v[110:111]
	v_fma_f64 v[40:41], v[74:75], v[76:77], -v[78:79]
	;; [unrolled: 2-line block ×3, first 2 shown]
	ds_store_b128 v120, v[30:33] offset:1760
	ds_store_b128 v120, v[0:3] offset:4160
	;; [unrolled: 1-line block ×11, first 2 shown]
.LBB0_3:
	s_or_b32 exec_lo, exec_lo, s3
	s_waitcnt lgkmcnt(0)
	s_waitcnt_vscnt null, 0x0
	s_barrier
	buffer_gl0_inv
	ds_load_b128 v[0:3], v120
	ds_load_b128 v[44:47], v120 offset:2400
	ds_load_b128 v[8:11], v120 offset:4800
	;; [unrolled: 1-line block ×10, first 2 shown]
                                        ; implicit-def: $vgpr56_vgpr57
                                        ; implicit-def: $vgpr60_vgpr61
                                        ; implicit-def: $vgpr64_vgpr65
                                        ; implicit-def: $vgpr72_vgpr73
                                        ; implicit-def: $vgpr76_vgpr77
                                        ; implicit-def: $vgpr92_vgpr93
                                        ; implicit-def: $vgpr88_vgpr89
                                        ; implicit-def: $vgpr84_vgpr85
                                        ; implicit-def: $vgpr80_vgpr81
                                        ; implicit-def: $vgpr96_vgpr97
                                        ; implicit-def: $vgpr100_vgpr101
	s_and_saveexec_b32 s2, vcc_lo
	s_cbranch_execz .LBB0_5
; %bb.4:
	ds_load_b128 v[56:59], v120 offset:1760
	ds_load_b128 v[60:63], v120 offset:4160
	;; [unrolled: 1-line block ×11, first 2 shown]
.LBB0_5:
	s_or_b32 exec_lo, exec_lo, s2
	s_waitcnt lgkmcnt(9)
	v_add_f64 v[36:37], v[0:1], v[44:45]
	v_add_f64 v[38:39], v[2:3], v[46:47]
	s_waitcnt lgkmcnt(1)
	v_add_f64 v[52:53], v[8:9], -v[48:49]
	v_add_f64 v[54:55], v[10:11], -v[50:51]
	s_mov_b32 s24, 0xf8bb580b
	s_mov_b32 s26, 0x8eee2c13
	;; [unrolled: 1-line block ×28, first 2 shown]
	v_add_f64 v[166:167], v[64:65], -v[96:97]
	v_add_f64 v[168:169], v[74:75], -v[82:83]
	;; [unrolled: 1-line block ×6, first 2 shown]
	v_add_f64 v[36:37], v[36:37], v[8:9]
	v_add_f64 v[38:39], v[38:39], v[10:11]
	v_add_f64 v[178:179], v[92:93], -v[88:89]
	v_mul_lo_u16 v121, v202, 11
	s_delay_alu instid0(VALU_DEP_1) | instskip(SKIP_3) | instid1(VALU_DEP_2)
	v_and_b32_e32 v121, 0xffff, v121
	v_mul_f64 v[182:183], v[166:167], s[36:37]
	v_add_f64 v[36:37], v[36:37], v[16:17]
	v_add_f64 v[38:39], v[38:39], v[18:19]
	;; [unrolled: 1-line block ×3, first 2 shown]
	s_delay_alu instid0(VALU_DEP_2) | instskip(NEXT) | instid1(VALU_DEP_2)
	v_add_f64 v[38:39], v[38:39], v[26:27]
	v_add_f64 v[40:41], v[36:37], v[32:33]
	s_delay_alu instid0(VALU_DEP_2)
	v_add_f64 v[42:43], v[38:39], v[34:35]
	v_add_f64 v[36:37], v[32:33], v[28:29]
	v_add_f64 v[38:39], v[34:35], v[30:31]
	v_add_f64 v[32:33], v[32:33], -v[28:29]
	v_add_f64 v[34:35], v[34:35], -v[30:31]
	v_add_f64 v[40:41], v[40:41], v[28:29]
	v_add_f64 v[42:43], v[42:43], v[30:31]
	v_add_f64 v[28:29], v[24:25], v[20:21]
	v_add_f64 v[30:31], v[26:27], v[22:23]
	v_add_f64 v[24:25], v[24:25], -v[20:21]
	v_add_f64 v[26:27], v[26:27], -v[22:23]
	v_add_f64 v[40:41], v[40:41], v[20:21]
	;; [unrolled: 6-line block ×3, first 2 shown]
	v_add_f64 v[14:15], v[42:43], v[14:15]
	v_add_f64 v[40:41], v[8:9], v[48:49]
	;; [unrolled: 1-line block ×3, first 2 shown]
	s_delay_alu instid0(VALU_DEP_4) | instskip(NEXT) | instid1(VALU_DEP_4)
	v_add_f64 v[8:9], v[12:13], v[48:49]
	v_add_f64 v[10:11], v[14:15], v[50:51]
	s_waitcnt lgkmcnt(0)
	v_add_f64 v[12:13], v[46:47], -v[6:7]
	v_add_f64 v[14:15], v[44:45], v[4:5]
	v_add_f64 v[46:47], v[46:47], v[6:7]
	v_add_f64 v[44:45], v[44:45], -v[4:5]
	v_add_f64 v[8:9], v[8:9], v[4:5]
	v_add_f64 v[10:11], v[10:11], v[6:7]
	v_mul_f64 v[4:5], v[12:13], s[24:25]
	v_mul_f64 v[6:7], v[12:13], s[26:27]
	;; [unrolled: 1-line block ×8, first 2 shown]
	v_fma_f64 v[68:69], v[14:15], s[8:9], -v[4:5]
	v_fma_f64 v[4:5], v[14:15], s[8:9], v[4:5]
	v_fma_f64 v[70:71], v[14:15], s[18:19], -v[6:7]
	v_fma_f64 v[6:7], v[14:15], s[18:19], v[6:7]
	;; [unrolled: 2-line block ×5, first 2 shown]
	v_mul_f64 v[14:15], v[44:45], s[24:25]
	v_mul_f64 v[44:45], v[44:45], s[22:23]
	v_fma_f64 v[122:123], v[46:47], s[18:19], v[112:113]
	v_fma_f64 v[112:113], v[46:47], s[18:19], -v[112:113]
	v_fma_f64 v[124:125], v[46:47], s[14:15], v[114:115]
	v_fma_f64 v[114:115], v[46:47], s[14:15], -v[114:115]
	;; [unrolled: 2-line block ×3, first 2 shown]
	v_add_f64 v[4:5], v[0:1], v[4:5]
	v_add_f64 v[70:71], v[0:1], v[70:71]
	;; [unrolled: 1-line block ×8, first 2 shown]
	v_fma_f64 v[118:119], v[46:47], s[8:9], v[14:15]
	v_fma_f64 v[14:15], v[46:47], s[8:9], -v[14:15]
	v_fma_f64 v[128:129], v[46:47], s[12:13], v[44:45]
	v_fma_f64 v[44:45], v[46:47], s[12:13], -v[44:45]
	v_add_f64 v[46:47], v[0:1], v[68:69]
	v_add_f64 v[122:123], v[2:3], v[122:123]
	;; [unrolled: 1-line block ×12, first 2 shown]
	v_mul_f64 v[44:45], v[54:55], s[26:27]
	s_delay_alu instid0(VALU_DEP_1) | instskip(SKIP_1) | instid1(VALU_DEP_2)
	v_fma_f64 v[12:13], v[40:41], s[18:19], -v[44:45]
	v_fma_f64 v[44:45], v[40:41], s[18:19], v[44:45]
	v_add_f64 v[12:13], v[12:13], v[46:47]
	v_mul_f64 v[46:47], v[52:53], s[26:27]
	s_delay_alu instid0(VALU_DEP_3) | instskip(NEXT) | instid1(VALU_DEP_2)
	v_add_f64 v[4:5], v[44:45], v[4:5]
	v_fma_f64 v[14:15], v[42:43], s[18:19], v[46:47]
	v_fma_f64 v[44:45], v[42:43], s[18:19], -v[46:47]
	s_delay_alu instid0(VALU_DEP_2) | instskip(SKIP_1) | instid1(VALU_DEP_3)
	v_add_f64 v[14:15], v[14:15], v[68:69]
	v_mul_f64 v[68:69], v[18:19], s[2:3]
	v_add_f64 v[44:45], v[44:45], v[118:119]
	s_delay_alu instid0(VALU_DEP_2) | instskip(SKIP_1) | instid1(VALU_DEP_2)
	v_fma_f64 v[130:131], v[20:21], s[14:15], -v[68:69]
	v_fma_f64 v[46:47], v[20:21], s[14:15], v[68:69]
	v_add_f64 v[12:13], v[130:131], v[12:13]
	v_mul_f64 v[130:131], v[16:17], s[2:3]
	s_delay_alu instid0(VALU_DEP_3) | instskip(NEXT) | instid1(VALU_DEP_2)
	v_add_f64 v[4:5], v[46:47], v[4:5]
	v_fma_f64 v[132:133], v[22:23], s[14:15], v[130:131]
	v_fma_f64 v[46:47], v[22:23], s[14:15], -v[130:131]
	s_delay_alu instid0(VALU_DEP_2) | instskip(SKIP_1) | instid1(VALU_DEP_3)
	v_add_f64 v[14:15], v[132:133], v[14:15]
	v_mul_f64 v[132:133], v[26:27], s[20:21]
	v_add_f64 v[44:45], v[46:47], v[44:45]
	s_delay_alu instid0(VALU_DEP_2) | instskip(SKIP_1) | instid1(VALU_DEP_2)
	;; [unrolled: 13-line block ×3, first 2 shown]
	v_fma_f64 v[138:139], v[36:37], s[12:13], -v[136:137]
	v_fma_f64 v[46:47], v[36:37], s[12:13], v[136:137]
	v_add_f64 v[12:13], v[138:139], v[12:13]
	v_mul_f64 v[138:139], v[32:33], s[22:23]
	s_delay_alu instid0(VALU_DEP_3) | instskip(SKIP_2) | instid1(VALU_DEP_4)
	v_add_f64 v[130:131], v[46:47], v[4:5]
	v_mul_f64 v[4:5], v[54:55], s[20:21]
	v_mul_f64 v[46:47], v[52:53], s[20:21]
	v_fma_f64 v[68:69], v[38:39], s[12:13], -v[138:139]
	v_fma_f64 v[140:141], v[38:39], s[12:13], v[138:139]
	v_mul_f64 v[138:139], v[24:25], s[34:35]
	s_delay_alu instid0(VALU_DEP_3)
	v_add_f64 v[132:133], v[68:69], v[44:45]
	v_fma_f64 v[44:45], v[40:41], s[16:17], -v[4:5]
	v_fma_f64 v[68:69], v[42:43], s[16:17], v[46:47]
	v_fma_f64 v[4:5], v[40:41], s[16:17], v[4:5]
	v_add_f64 v[14:15], v[140:141], v[14:15]
	v_mul_f64 v[140:141], v[34:35], s[28:29]
	v_add_f64 v[44:45], v[44:45], v[70:71]
	v_mul_f64 v[70:71], v[18:19], s[36:37]
	v_add_f64 v[68:69], v[68:69], v[122:123]
	v_add_f64 v[4:5], v[4:5], v[6:7]
	v_fma_f64 v[6:7], v[42:43], s[16:17], -v[46:47]
	s_delay_alu instid0(VALU_DEP_4) | instskip(SKIP_1) | instid1(VALU_DEP_3)
	v_fma_f64 v[118:119], v[20:21], s[12:13], -v[70:71]
	v_fma_f64 v[46:47], v[20:21], s[12:13], v[70:71]
	v_add_f64 v[6:7], v[6:7], v[112:113]
	s_delay_alu instid0(VALU_DEP_3) | instskip(SKIP_1) | instid1(VALU_DEP_4)
	v_add_f64 v[44:45], v[118:119], v[44:45]
	v_mul_f64 v[118:119], v[16:17], s[36:37]
	v_add_f64 v[4:5], v[46:47], v[4:5]
	s_delay_alu instid0(VALU_DEP_2) | instskip(SKIP_1) | instid1(VALU_DEP_2)
	v_fma_f64 v[122:123], v[22:23], s[12:13], v[118:119]
	v_fma_f64 v[46:47], v[22:23], s[12:13], -v[118:119]
	v_add_f64 v[68:69], v[122:123], v[68:69]
	v_mul_f64 v[122:123], v[26:27], s[34:35]
	s_delay_alu instid0(VALU_DEP_3) | instskip(NEXT) | instid1(VALU_DEP_2)
	v_add_f64 v[6:7], v[46:47], v[6:7]
	v_fma_f64 v[134:135], v[28:29], s[14:15], -v[122:123]
	v_fma_f64 v[46:47], v[28:29], s[14:15], v[122:123]
	s_delay_alu instid0(VALU_DEP_2) | instskip(SKIP_1) | instid1(VALU_DEP_3)
	v_add_f64 v[44:45], v[134:135], v[44:45]
	v_fma_f64 v[134:135], v[30:31], s[14:15], v[138:139]
	v_add_f64 v[4:5], v[46:47], v[4:5]
	v_fma_f64 v[46:47], v[30:31], s[14:15], -v[138:139]
	s_delay_alu instid0(VALU_DEP_3) | instskip(SKIP_1) | instid1(VALU_DEP_3)
	v_add_f64 v[68:69], v[134:135], v[68:69]
	v_fma_f64 v[134:135], v[36:37], s[8:9], -v[140:141]
	v_add_f64 v[6:7], v[46:47], v[6:7]
	v_fma_f64 v[46:47], v[36:37], s[8:9], v[140:141]
	s_delay_alu instid0(VALU_DEP_3) | instskip(SKIP_1) | instid1(VALU_DEP_3)
	v_add_f64 v[134:135], v[134:135], v[44:45]
	v_mul_f64 v[44:45], v[32:33], s[28:29]
	v_add_f64 v[138:139], v[46:47], v[4:5]
	v_mul_f64 v[4:5], v[54:55], s[36:37]
	s_delay_alu instid0(VALU_DEP_3) | instskip(SKIP_1) | instid1(VALU_DEP_2)
	v_fma_f64 v[136:137], v[38:39], s[8:9], v[44:45]
	v_fma_f64 v[44:45], v[38:39], s[8:9], -v[44:45]
	v_add_f64 v[136:137], v[136:137], v[68:69]
	s_delay_alu instid0(VALU_DEP_2) | instskip(SKIP_4) | instid1(VALU_DEP_4)
	v_add_f64 v[140:141], v[44:45], v[6:7]
	v_fma_f64 v[6:7], v[40:41], s[12:13], -v[4:5]
	v_mul_f64 v[68:69], v[18:19], s[30:31]
	v_mul_f64 v[44:45], v[52:53], s[36:37]
	v_fma_f64 v[4:5], v[40:41], s[12:13], v[4:5]
	v_add_f64 v[6:7], v[6:7], v[106:107]
	s_delay_alu instid0(VALU_DEP_4) | instskip(NEXT) | instid1(VALU_DEP_4)
	v_fma_f64 v[70:71], v[20:21], s[18:19], -v[68:69]
	v_fma_f64 v[46:47], v[42:43], s[12:13], v[44:45]
	s_delay_alu instid0(VALU_DEP_4)
	v_add_f64 v[4:5], v[4:5], v[48:49]
	v_fma_f64 v[44:45], v[42:43], s[12:13], -v[44:45]
	v_mul_f64 v[48:49], v[18:19], s[24:25]
	v_mul_f64 v[18:19], v[18:19], s[20:21]
	v_add_f64 v[6:7], v[70:71], v[6:7]
	v_mul_f64 v[70:71], v[16:17], s[30:31]
	v_add_f64 v[46:47], v[46:47], v[124:125]
	v_add_f64 v[44:45], v[44:45], v[114:115]
	s_delay_alu instid0(VALU_DEP_3) | instskip(NEXT) | instid1(VALU_DEP_1)
	v_fma_f64 v[106:107], v[22:23], s[18:19], v[70:71]
	v_add_f64 v[46:47], v[106:107], v[46:47]
	v_mul_f64 v[106:107], v[26:27], s[24:25]
	s_delay_alu instid0(VALU_DEP_1) | instskip(NEXT) | instid1(VALU_DEP_1)
	v_fma_f64 v[112:113], v[28:29], s[8:9], -v[106:107]
	v_add_f64 v[6:7], v[112:113], v[6:7]
	v_mul_f64 v[112:113], v[24:25], s[24:25]
	s_delay_alu instid0(VALU_DEP_1) | instskip(NEXT) | instid1(VALU_DEP_1)
	v_fma_f64 v[118:119], v[30:31], s[8:9], v[112:113]
	v_add_f64 v[46:47], v[118:119], v[46:47]
	v_mul_f64 v[118:119], v[34:35], s[20:21]
	s_delay_alu instid0(VALU_DEP_1) | instskip(NEXT) | instid1(VALU_DEP_1)
	v_fma_f64 v[122:123], v[36:37], s[16:17], -v[118:119]
	v_add_f64 v[142:143], v[122:123], v[6:7]
	v_mul_f64 v[6:7], v[32:33], s[20:21]
	s_delay_alu instid0(VALU_DEP_1) | instskip(SKIP_1) | instid1(VALU_DEP_2)
	v_fma_f64 v[122:123], v[38:39], s[16:17], v[6:7]
	v_fma_f64 v[6:7], v[38:39], s[16:17], -v[6:7]
	v_add_f64 v[144:145], v[122:123], v[46:47]
	v_fma_f64 v[46:47], v[20:21], s[18:19], v[68:69]
	v_fma_f64 v[68:69], v[20:21], s[8:9], -v[48:49]
	v_add_f64 v[122:123], v[60:61], -v[100:101]
	s_delay_alu instid0(VALU_DEP_3) | instskip(SKIP_1) | instid1(VALU_DEP_3)
	v_add_f64 v[4:5], v[46:47], v[4:5]
	v_fma_f64 v[46:47], v[22:23], s[18:19], -v[70:71]
	v_mul_f64 v[180:181], v[122:123], s[2:3]
	s_delay_alu instid0(VALU_DEP_2) | instskip(SKIP_1) | instid1(VALU_DEP_1)
	v_add_f64 v[44:45], v[46:47], v[44:45]
	v_fma_f64 v[46:47], v[28:29], s[8:9], v[106:107]
	v_add_f64 v[4:5], v[46:47], v[4:5]
	v_fma_f64 v[46:47], v[30:31], s[8:9], -v[112:113]
	s_delay_alu instid0(VALU_DEP_1) | instskip(SKIP_2) | instid1(VALU_DEP_3)
	v_add_f64 v[44:45], v[46:47], v[44:45]
	v_fma_f64 v[46:47], v[36:37], s[16:17], v[118:119]
	v_add_f64 v[118:119], v[66:67], -v[98:99]
	v_add_f64 v[148:149], v[6:7], v[44:45]
	s_delay_alu instid0(VALU_DEP_3) | instskip(SKIP_3) | instid1(VALU_DEP_3)
	v_add_f64 v[146:147], v[46:47], v[4:5]
	v_mul_f64 v[4:5], v[54:55], s[34:35]
	v_mul_f64 v[44:45], v[52:53], s[34:35]
	;; [unrolled: 1-line block ×3, first 2 shown]
	v_fma_f64 v[6:7], v[40:41], s[14:15], -v[4:5]
	s_delay_alu instid0(VALU_DEP_3) | instskip(SKIP_2) | instid1(VALU_DEP_4)
	v_fma_f64 v[46:47], v[42:43], s[14:15], v[44:45]
	v_fma_f64 v[4:5], v[40:41], s[14:15], v[4:5]
	v_fma_f64 v[44:45], v[42:43], s[14:15], -v[44:45]
	v_add_f64 v[6:7], v[6:7], v[108:109]
	s_delay_alu instid0(VALU_DEP_4) | instskip(NEXT) | instid1(VALU_DEP_4)
	v_add_f64 v[46:47], v[46:47], v[126:127]
	v_add_f64 v[4:5], v[4:5], v[50:51]
	s_delay_alu instid0(VALU_DEP_4)
	v_add_f64 v[44:45], v[44:45], v[116:117]
	v_add_f64 v[116:117], v[62:63], -v[102:103]
	v_add_f64 v[50:51], v[74:75], v[82:83]
	v_mul_f64 v[126:127], v[166:167], s[20:21]
	v_add_f64 v[6:7], v[68:69], v[6:7]
	v_mul_f64 v[68:69], v[16:17], s[24:25]
	v_mul_f64 v[16:17], v[16:17], s[20:21]
	;; [unrolled: 1-line block ×3, first 2 shown]
	s_delay_alu instid0(VALU_DEP_3) | instskip(NEXT) | instid1(VALU_DEP_1)
	v_fma_f64 v[70:71], v[22:23], s[8:9], v[68:69]
	v_add_f64 v[46:47], v[70:71], v[46:47]
	v_mul_f64 v[70:71], v[26:27], s[22:23]
	v_mul_f64 v[26:27], v[26:27], s[30:31]
	s_delay_alu instid0(VALU_DEP_2) | instskip(NEXT) | instid1(VALU_DEP_1)
	v_fma_f64 v[106:107], v[28:29], s[12:13], -v[70:71]
	v_add_f64 v[6:7], v[106:107], v[6:7]
	v_mul_f64 v[106:107], v[24:25], s[22:23]
	v_mul_f64 v[24:25], v[24:25], s[30:31]
	s_delay_alu instid0(VALU_DEP_2) | instskip(NEXT) | instid1(VALU_DEP_1)
	v_fma_f64 v[108:109], v[30:31], s[12:13], v[106:107]
	v_add_f64 v[46:47], v[108:109], v[46:47]
	v_mul_f64 v[108:109], v[34:35], s[30:31]
	v_mul_f64 v[34:35], v[34:35], s[2:3]
	s_delay_alu instid0(VALU_DEP_2) | instskip(NEXT) | instid1(VALU_DEP_1)
	v_fma_f64 v[112:113], v[36:37], s[18:19], -v[108:109]
	v_add_f64 v[150:151], v[112:113], v[6:7]
	v_mul_f64 v[6:7], v[32:33], s[30:31]
	v_mul_f64 v[32:33], v[32:33], s[2:3]
	s_delay_alu instid0(VALU_DEP_2) | instskip(SKIP_1) | instid1(VALU_DEP_2)
	v_fma_f64 v[112:113], v[38:39], s[18:19], v[6:7]
	v_fma_f64 v[6:7], v[38:39], s[18:19], -v[6:7]
	v_add_f64 v[152:153], v[112:113], v[46:47]
	v_fma_f64 v[46:47], v[20:21], s[8:9], v[48:49]
	v_fma_f64 v[48:49], v[20:21], s[16:17], -v[18:19]
	v_fma_f64 v[18:19], v[20:21], s[16:17], v[18:19]
	v_mul_f64 v[20:21], v[118:119], s[26:27]
	v_mul_f64 v[112:113], v[170:171], s[36:37]
	v_add_f64 v[4:5], v[46:47], v[4:5]
	v_fma_f64 v[46:47], v[22:23], s[8:9], -v[68:69]
	v_mul_f64 v[68:69], v[176:177], s[28:29]
	s_delay_alu instid0(VALU_DEP_2) | instskip(SKIP_2) | instid1(VALU_DEP_2)
	v_add_f64 v[44:45], v[46:47], v[44:45]
	v_fma_f64 v[46:47], v[28:29], s[12:13], v[70:71]
	v_mul_f64 v[70:71], v[172:173], s[34:35]
	v_add_f64 v[4:5], v[46:47], v[4:5]
	v_fma_f64 v[46:47], v[30:31], s[12:13], -v[106:107]
	v_mul_f64 v[106:107], v[178:179], s[28:29]
	s_delay_alu instid0(VALU_DEP_2) | instskip(SKIP_2) | instid1(VALU_DEP_3)
	v_add_f64 v[44:45], v[46:47], v[44:45]
	v_fma_f64 v[46:47], v[36:37], s[18:19], v[108:109]
	v_mul_f64 v[108:109], v[174:175], s[34:35]
	v_add_f64 v[156:157], v[6:7], v[44:45]
	s_delay_alu instid0(VALU_DEP_3) | instskip(SKIP_4) | instid1(VALU_DEP_4)
	v_add_f64 v[154:155], v[46:47], v[4:5]
	v_mul_f64 v[4:5], v[54:55], s[28:29]
	v_mul_f64 v[44:45], v[52:53], s[28:29]
	v_add_f64 v[54:55], v[62:63], v[102:103]
	v_add_f64 v[52:53], v[66:67], v[98:99]
	v_fma_f64 v[6:7], v[40:41], s[8:9], -v[4:5]
	s_delay_alu instid0(VALU_DEP_4)
	v_fma_f64 v[46:47], v[42:43], s[8:9], v[44:45]
	v_fma_f64 v[4:5], v[40:41], s[8:9], v[4:5]
	v_add_f64 v[40:41], v[76:77], v[84:85]
	v_fma_f64 v[184:185], v[52:53], s[12:13], v[182:183]
	v_add_f64 v[6:7], v[6:7], v[110:111]
	v_add_f64 v[46:47], v[46:47], v[128:129]
	;; [unrolled: 1-line block ×3, first 2 shown]
	v_fma_f64 v[4:5], v[28:29], s[18:19], v[26:27]
	v_mul_f64 v[128:129], v[122:123], s[26:27]
	v_mul_f64 v[110:111], v[168:169], s[36:37]
	v_add_f64 v[6:7], v[48:49], v[6:7]
	v_fma_f64 v[48:49], v[22:23], s[16:17], v[16:17]
	v_fma_f64 v[16:17], v[22:23], s[16:17], -v[16:17]
	v_add_f64 v[0:1], v[18:19], v[0:1]
	v_fma_f64 v[18:19], v[38:39], s[14:15], -v[32:33]
	v_mul_f64 v[22:23], v[168:169], s[2:3]
	v_add_f64 v[46:47], v[48:49], v[46:47]
	v_fma_f64 v[48:49], v[28:29], s[18:19], -v[26:27]
	v_add_f64 v[0:1], v[4:5], v[0:1]
	v_mul_f64 v[26:27], v[174:175], s[20:21]
	v_mul_f64 v[28:29], v[178:179], s[22:23]
	s_delay_alu instid0(VALU_DEP_4) | instskip(SKIP_1) | instid1(VALU_DEP_1)
	v_add_f64 v[6:7], v[48:49], v[6:7]
	v_fma_f64 v[48:49], v[30:31], s[18:19], v[24:25]
	v_add_f64 v[46:47], v[48:49], v[46:47]
	v_fma_f64 v[48:49], v[36:37], s[14:15], -v[34:35]
	s_delay_alu instid0(VALU_DEP_1) | instskip(SKIP_4) | instid1(VALU_DEP_4)
	v_add_f64 v[158:159], v[48:49], v[6:7]
	v_fma_f64 v[6:7], v[38:39], s[14:15], v[32:33]
	v_add_f64 v[38:39], v[64:65], v[96:97]
	v_mul_f64 v[32:33], v[166:167], s[26:27]
	v_add_f64 v[48:49], v[78:79], v[86:87]
	v_add_f64 v[160:161], v[6:7], v[46:47]
	v_fma_f64 v[6:7], v[42:43], s[8:9], -v[44:45]
	v_mul_f64 v[44:45], v[122:123], s[24:25]
	v_fma_f64 v[4:5], v[52:53], s[18:19], -v[32:33]
	v_add_f64 v[46:47], v[72:73], v[80:81]
	v_add_f64 v[42:43], v[94:95], v[90:91]
	;; [unrolled: 1-line block ×3, first 2 shown]
	v_fma_f64 v[6:7], v[30:31], s[18:19], -v[24:25]
	v_mul_f64 v[24:25], v[116:117], s[24:25]
	v_mul_f64 v[30:31], v[170:171], s[2:3]
	s_delay_alu instid0(VALU_DEP_4) | instskip(SKIP_3) | instid1(VALU_DEP_4)
	v_add_f64 v[2:3], v[16:17], v[2:3]
	v_fma_f64 v[16:17], v[36:37], s[14:15], v[34:35]
	v_add_f64 v[36:37], v[60:61], v[100:101]
	v_add_f64 v[34:35], v[92:93], v[88:89]
	;; [unrolled: 1-line block ×3, first 2 shown]
	s_delay_alu instid0(VALU_DEP_4) | instskip(NEXT) | instid1(VALU_DEP_4)
	v_add_f64 v[162:163], v[16:17], v[0:1]
	v_fma_f64 v[0:1], v[36:37], s[8:9], v[24:25]
	v_mul_f64 v[16:17], v[172:173], s[20:21]
	s_delay_alu instid0(VALU_DEP_4) | instskip(SKIP_1) | instid1(VALU_DEP_4)
	v_add_f64 v[164:165], v[18:19], v[2:3]
	v_fma_f64 v[2:3], v[38:39], s[18:19], v[20:21]
	v_add_f64 v[0:1], v[56:57], v[0:1]
	v_mul_f64 v[18:19], v[176:177], s[22:23]
	s_delay_alu instid0(VALU_DEP_2) | instskip(SKIP_1) | instid1(VALU_DEP_1)
	v_add_f64 v[0:1], v[2:3], v[0:1]
	v_fma_f64 v[2:3], v[54:55], s[8:9], -v[44:45]
	v_add_f64 v[2:3], v[58:59], v[2:3]
	s_delay_alu instid0(VALU_DEP_1) | instskip(SKIP_1) | instid1(VALU_DEP_1)
	v_add_f64 v[2:3], v[4:5], v[2:3]
	v_fma_f64 v[4:5], v[46:47], s[14:15], v[22:23]
	v_add_f64 v[0:1], v[4:5], v[0:1]
	v_fma_f64 v[4:5], v[50:51], s[14:15], -v[30:31]
	s_delay_alu instid0(VALU_DEP_1) | instskip(SKIP_1) | instid1(VALU_DEP_1)
	v_add_f64 v[2:3], v[4:5], v[2:3]
	v_fma_f64 v[4:5], v[40:41], s[16:17], v[16:17]
	v_add_f64 v[0:1], v[4:5], v[0:1]
	v_fma_f64 v[4:5], v[48:49], s[16:17], -v[26:27]
	;; [unrolled: 5-line block ×3, first 2 shown]
	s_delay_alu instid0(VALU_DEP_1)
	v_add_f64 v[6:7], v[0:1], v[2:3]
	v_fma_f64 v[0:1], v[36:37], s[18:19], v[124:125]
	v_fma_f64 v[2:3], v[38:39], s[16:17], v[114:115]
	scratch_store_b128 off, v[4:7], off     ; 16-byte Folded Spill
	v_add_f64 v[0:1], v[56:57], v[0:1]
	v_fma_f64 v[4:5], v[52:53], s[16:17], -v[126:127]
	s_delay_alu instid0(VALU_DEP_2) | instskip(SKIP_1) | instid1(VALU_DEP_1)
	v_add_f64 v[0:1], v[2:3], v[0:1]
	v_fma_f64 v[2:3], v[54:55], s[18:19], -v[128:129]
	v_add_f64 v[2:3], v[58:59], v[2:3]
	s_delay_alu instid0(VALU_DEP_1) | instskip(SKIP_1) | instid1(VALU_DEP_1)
	v_add_f64 v[2:3], v[4:5], v[2:3]
	v_fma_f64 v[4:5], v[46:47], s[12:13], v[110:111]
	v_add_f64 v[0:1], v[4:5], v[0:1]
	v_fma_f64 v[4:5], v[50:51], s[12:13], -v[112:113]
	s_delay_alu instid0(VALU_DEP_1) | instskip(SKIP_1) | instid1(VALU_DEP_1)
	v_add_f64 v[2:3], v[4:5], v[2:3]
	v_fma_f64 v[4:5], v[40:41], s[14:15], v[70:71]
	v_add_f64 v[0:1], v[4:5], v[0:1]
	v_fma_f64 v[4:5], v[48:49], s[14:15], -v[108:109]
	;; [unrolled: 5-line block ×3, first 2 shown]
	s_delay_alu instid0(VALU_DEP_1) | instskip(SKIP_3) | instid1(VALU_DEP_2)
	v_add_f64 v[6:7], v[0:1], v[2:3]
	scratch_store_b128 off, v[4:7], off offset:16 ; 16-byte Folded Spill
	v_mul_f64 v[4:5], v[116:117], s[2:3]
	v_mul_f64 v[6:7], v[118:119], s[36:37]
	v_fma_f64 v[0:1], v[36:37], s[14:15], -v[4:5]
	s_delay_alu instid0(VALU_DEP_2) | instskip(SKIP_2) | instid1(VALU_DEP_4)
	v_fma_f64 v[2:3], v[38:39], s[12:13], -v[6:7]
	v_fma_f64 v[4:5], v[36:37], s[14:15], v[4:5]
	v_fma_f64 v[6:7], v[38:39], s[12:13], v[6:7]
	v_add_f64 v[0:1], v[56:57], v[0:1]
	s_delay_alu instid0(VALU_DEP_3) | instskip(NEXT) | instid1(VALU_DEP_2)
	v_add_f64 v[4:5], v[56:57], v[4:5]
	v_add_f64 v[0:1], v[2:3], v[0:1]
	v_fma_f64 v[2:3], v[54:55], s[14:15], v[180:181]
	s_delay_alu instid0(VALU_DEP_3) | instskip(SKIP_2) | instid1(VALU_DEP_4)
	v_add_f64 v[4:5], v[6:7], v[4:5]
	v_fma_f64 v[6:7], v[54:55], s[14:15], -v[180:181]
	v_fma_f64 v[180:181], v[52:53], s[12:13], -v[182:183]
	v_add_f64 v[2:3], v[58:59], v[2:3]
	s_delay_alu instid0(VALU_DEP_3) | instskip(NEXT) | instid1(VALU_DEP_2)
	v_add_f64 v[6:7], v[58:59], v[6:7]
	v_add_f64 v[2:3], v[184:185], v[2:3]
	v_mul_f64 v[184:185], v[168:169], s[30:31]
	s_delay_alu instid0(VALU_DEP_3) | instskip(NEXT) | instid1(VALU_DEP_2)
	v_add_f64 v[6:7], v[180:181], v[6:7]
	v_fma_f64 v[186:187], v[46:47], s[18:19], -v[184:185]
	v_fma_f64 v[180:181], v[46:47], s[18:19], v[184:185]
	v_mul_f64 v[184:185], v[122:123], s[20:21]
	v_mul_f64 v[122:123], v[122:123], s[22:23]
	s_delay_alu instid0(VALU_DEP_4) | instskip(SKIP_2) | instid1(VALU_DEP_2)
	v_add_f64 v[0:1], v[186:187], v[0:1]
	v_mul_f64 v[186:187], v[170:171], s[30:31]
	v_add_f64 v[4:5], v[180:181], v[4:5]
	v_fma_f64 v[188:189], v[50:51], s[18:19], v[186:187]
	v_fma_f64 v[180:181], v[50:51], s[18:19], -v[186:187]
	v_mul_f64 v[186:187], v[166:167], s[34:35]
	v_mul_f64 v[166:167], v[166:167], s[28:29]
	s_delay_alu instid0(VALU_DEP_4) | instskip(SKIP_2) | instid1(VALU_DEP_2)
	v_add_f64 v[2:3], v[188:189], v[2:3]
	v_mul_f64 v[188:189], v[172:173], s[24:25]
	v_add_f64 v[6:7], v[180:181], v[6:7]
	v_fma_f64 v[190:191], v[40:41], s[8:9], -v[188:189]
	v_fma_f64 v[180:181], v[40:41], s[8:9], v[188:189]
	v_fma_f64 v[188:189], v[52:53], s[14:15], v[186:187]
	s_delay_alu instid0(VALU_DEP_3) | instskip(SKIP_1) | instid1(VALU_DEP_4)
	v_add_f64 v[0:1], v[190:191], v[0:1]
	v_mul_f64 v[190:191], v[174:175], s[24:25]
	v_add_f64 v[4:5], v[180:181], v[4:5]
	s_delay_alu instid0(VALU_DEP_2) | instskip(SKIP_1) | instid1(VALU_DEP_2)
	v_fma_f64 v[192:193], v[48:49], s[8:9], v[190:191]
	v_fma_f64 v[180:181], v[48:49], s[8:9], -v[190:191]
	v_add_f64 v[2:3], v[192:193], v[2:3]
	v_mul_f64 v[192:193], v[176:177], s[20:21]
	s_delay_alu instid0(VALU_DEP_3) | instskip(NEXT) | instid1(VALU_DEP_2)
	v_add_f64 v[6:7], v[180:181], v[6:7]
	v_fma_f64 v[194:195], v[34:35], s[16:17], -v[192:193]
	v_fma_f64 v[180:181], v[34:35], s[16:17], v[192:193]
	s_delay_alu instid0(VALU_DEP_2) | instskip(SKIP_1) | instid1(VALU_DEP_3)
	v_add_f64 v[0:1], v[194:195], v[0:1]
	v_mul_f64 v[194:195], v[178:179], s[20:21]
	v_add_f64 v[4:5], v[180:181], v[4:5]
	v_mul_f64 v[180:181], v[116:117], s[20:21]
	s_delay_alu instid0(VALU_DEP_3) | instskip(SKIP_1) | instid1(VALU_DEP_2)
	v_fma_f64 v[182:183], v[42:43], s[16:17], -v[194:195]
	v_fma_f64 v[196:197], v[42:43], s[16:17], v[194:195]
	v_add_f64 v[6:7], v[182:183], v[6:7]
	v_mul_f64 v[182:183], v[118:119], s[34:35]
	s_delay_alu instid0(VALU_DEP_3)
	v_add_f64 v[2:3], v[196:197], v[2:3]
	scratch_store_b128 off, v[4:7], off offset:32 ; 16-byte Folded Spill
	v_fma_f64 v[4:5], v[36:37], s[16:17], -v[180:181]
	v_fma_f64 v[6:7], v[38:39], s[14:15], -v[182:183]
	v_fma_f64 v[180:181], v[36:37], s[16:17], v[180:181]
	v_fma_f64 v[182:183], v[38:39], s[14:15], v[182:183]
	s_delay_alu instid0(VALU_DEP_4) | instskip(NEXT) | instid1(VALU_DEP_3)
	v_add_f64 v[4:5], v[56:57], v[4:5]
	v_add_f64 v[180:181], v[56:57], v[180:181]
	s_delay_alu instid0(VALU_DEP_2) | instskip(SKIP_1) | instid1(VALU_DEP_3)
	v_add_f64 v[4:5], v[6:7], v[4:5]
	v_fma_f64 v[6:7], v[54:55], s[16:17], v[184:185]
	v_add_f64 v[180:181], v[182:183], v[180:181]
	v_fma_f64 v[182:183], v[54:55], s[16:17], -v[184:185]
	v_fma_f64 v[184:185], v[52:53], s[14:15], -v[186:187]
	s_delay_alu instid0(VALU_DEP_4) | instskip(NEXT) | instid1(VALU_DEP_3)
	v_add_f64 v[6:7], v[58:59], v[6:7]
	v_add_f64 v[182:183], v[58:59], v[182:183]
	s_delay_alu instid0(VALU_DEP_2) | instskip(SKIP_1) | instid1(VALU_DEP_3)
	v_add_f64 v[6:7], v[188:189], v[6:7]
	v_mul_f64 v[188:189], v[168:169], s[24:25]
	v_add_f64 v[182:183], v[184:185], v[182:183]
	v_mul_f64 v[168:169], v[168:169], s[20:21]
	s_delay_alu instid0(VALU_DEP_3) | instskip(SKIP_1) | instid1(VALU_DEP_2)
	v_fma_f64 v[190:191], v[46:47], s[8:9], -v[188:189]
	v_fma_f64 v[184:185], v[46:47], s[8:9], v[188:189]
	v_add_f64 v[4:5], v[190:191], v[4:5]
	v_mul_f64 v[190:191], v[170:171], s[24:25]
	s_delay_alu instid0(VALU_DEP_3) | instskip(SKIP_1) | instid1(VALU_DEP_3)
	v_add_f64 v[180:181], v[184:185], v[180:181]
	v_mul_f64 v[170:171], v[170:171], s[20:21]
	v_fma_f64 v[192:193], v[50:51], s[8:9], v[190:191]
	v_fma_f64 v[184:185], v[50:51], s[8:9], -v[190:191]
	s_delay_alu instid0(VALU_DEP_2) | instskip(SKIP_1) | instid1(VALU_DEP_3)
	v_add_f64 v[6:7], v[192:193], v[6:7]
	v_mul_f64 v[192:193], v[172:173], s[22:23]
	v_add_f64 v[182:183], v[184:185], v[182:183]
	v_mul_f64 v[172:173], v[172:173], s[30:31]
	s_delay_alu instid0(VALU_DEP_3) | instskip(SKIP_1) | instid1(VALU_DEP_2)
	v_fma_f64 v[194:195], v[40:41], s[12:13], -v[192:193]
	v_fma_f64 v[184:185], v[40:41], s[12:13], v[192:193]
	v_add_f64 v[4:5], v[194:195], v[4:5]
	v_mul_f64 v[194:195], v[174:175], s[22:23]
	s_delay_alu instid0(VALU_DEP_3) | instskip(SKIP_1) | instid1(VALU_DEP_3)
	v_add_f64 v[180:181], v[184:185], v[180:181]
	v_mul_f64 v[174:175], v[174:175], s[30:31]
	v_fma_f64 v[196:197], v[48:49], s[12:13], v[194:195]
	v_fma_f64 v[184:185], v[48:49], s[12:13], -v[194:195]
	s_delay_alu instid0(VALU_DEP_2) | instskip(SKIP_1) | instid1(VALU_DEP_3)
	v_add_f64 v[6:7], v[196:197], v[6:7]
	v_mul_f64 v[196:197], v[176:177], s[30:31]
	v_add_f64 v[182:183], v[184:185], v[182:183]
	v_mul_f64 v[176:177], v[176:177], s[2:3]
	s_delay_alu instid0(VALU_DEP_3) | instskip(SKIP_1) | instid1(VALU_DEP_2)
	v_fma_f64 v[198:199], v[34:35], s[18:19], -v[196:197]
	v_fma_f64 v[184:185], v[34:35], s[18:19], v[196:197]
	v_add_f64 v[4:5], v[198:199], v[4:5]
	v_mul_f64 v[198:199], v[178:179], s[30:31]
	s_delay_alu instid0(VALU_DEP_3)
	v_add_f64 v[180:181], v[184:185], v[180:181]
	v_fma_f64 v[184:185], v[52:53], s[8:9], v[166:167]
	v_fma_f64 v[166:167], v[52:53], s[8:9], -v[166:167]
	v_mul_f64 v[178:179], v[178:179], s[2:3]
	s_load_b64 s[2:3], s[0:1], 0x8
	v_add_co_u32 v204, s0, 0x6e, v202
	v_fma_f64 v[186:187], v[42:43], s[18:19], -v[198:199]
	v_fma_f64 v[200:201], v[42:43], s[18:19], v[198:199]
	s_delay_alu instid0(VALU_DEP_2) | instskip(NEXT) | instid1(VALU_DEP_2)
	v_add_f64 v[182:183], v[186:187], v[182:183]
	v_add_f64 v[6:7], v[200:201], v[6:7]
	scratch_store_b128 off, v[180:183], off offset:48 ; 16-byte Folded Spill
	v_mul_f64 v[180:181], v[116:117], s[22:23]
	v_mul_f64 v[182:183], v[118:119], s[28:29]
	s_delay_alu instid0(VALU_DEP_2) | instskip(NEXT) | instid1(VALU_DEP_2)
	v_fma_f64 v[116:117], v[36:37], s[12:13], -v[180:181]
	v_fma_f64 v[118:119], v[38:39], s[8:9], -v[182:183]
	v_fma_f64 v[180:181], v[36:37], s[12:13], v[180:181]
	v_fma_f64 v[182:183], v[38:39], s[8:9], v[182:183]
	s_delay_alu instid0(VALU_DEP_4) | instskip(NEXT) | instid1(VALU_DEP_3)
	v_add_f64 v[116:117], v[56:57], v[116:117]
	v_add_f64 v[180:181], v[56:57], v[180:181]
	s_delay_alu instid0(VALU_DEP_2) | instskip(SKIP_2) | instid1(VALU_DEP_4)
	v_add_f64 v[116:117], v[118:119], v[116:117]
	v_fma_f64 v[118:119], v[54:55], s[12:13], v[122:123]
	v_fma_f64 v[122:123], v[54:55], s[12:13], -v[122:123]
	v_add_f64 v[180:181], v[182:183], v[180:181]
	s_delay_alu instid0(VALU_DEP_3) | instskip(NEXT) | instid1(VALU_DEP_3)
	v_add_f64 v[118:119], v[58:59], v[118:119]
	v_add_f64 v[122:123], v[58:59], v[122:123]
	s_delay_alu instid0(VALU_DEP_2) | instskip(SKIP_1) | instid1(VALU_DEP_3)
	v_add_f64 v[118:119], v[184:185], v[118:119]
	v_fma_f64 v[184:185], v[46:47], s[16:17], -v[168:169]
	v_add_f64 v[122:123], v[166:167], v[122:123]
	v_fma_f64 v[166:167], v[46:47], s[16:17], v[168:169]
	v_fma_f64 v[168:169], v[50:51], s[16:17], -v[170:171]
	s_delay_alu instid0(VALU_DEP_4) | instskip(SKIP_1) | instid1(VALU_DEP_4)
	v_add_f64 v[116:117], v[184:185], v[116:117]
	v_fma_f64 v[184:185], v[50:51], s[16:17], v[170:171]
	v_add_f64 v[166:167], v[166:167], v[180:181]
	s_delay_alu instid0(VALU_DEP_4) | instskip(SKIP_4) | instid1(VALU_DEP_4)
	v_add_f64 v[122:123], v[168:169], v[122:123]
	v_fma_f64 v[168:169], v[40:41], s[18:19], v[172:173]
	v_fma_f64 v[170:171], v[42:43], s[14:15], -v[178:179]
	v_add_f64 v[118:119], v[184:185], v[118:119]
	v_fma_f64 v[184:185], v[40:41], s[18:19], -v[172:173]
	v_add_f64 v[166:167], v[168:169], v[166:167]
	v_fma_f64 v[168:169], v[48:49], s[18:19], -v[174:175]
	s_delay_alu instid0(VALU_DEP_3) | instskip(SKIP_1) | instid1(VALU_DEP_3)
	v_add_f64 v[116:117], v[184:185], v[116:117]
	v_fma_f64 v[184:185], v[48:49], s[18:19], v[174:175]
	v_add_f64 v[122:123], v[168:169], v[122:123]
	v_fma_f64 v[168:169], v[34:35], s[14:15], v[176:177]
	s_delay_alu instid0(VALU_DEP_3) | instskip(SKIP_1) | instid1(VALU_DEP_3)
	v_add_f64 v[118:119], v[184:185], v[118:119]
	v_fma_f64 v[184:185], v[34:35], s[14:15], -v[176:177]
	v_add_f64 v[166:167], v[168:169], v[166:167]
	v_add_f64 v[168:169], v[170:171], v[122:123]
	v_lshlrev_b32_e32 v123, 4, v121
	s_delay_alu instid0(VALU_DEP_4)
	v_add_f64 v[116:117], v[184:185], v[116:117]
	v_fma_f64 v[184:185], v[42:43], s[14:15], v[178:179]
	scratch_store_b128 off, v[166:169], off offset:64 ; 16-byte Folded Spill
	s_waitcnt lgkmcnt(0)
	s_waitcnt_vscnt null, 0x0
	s_barrier
	buffer_gl0_inv
	ds_store_b128 v123, v[8:11]
	ds_store_b128 v123, v[12:15] offset:16
	ds_store_b128 v123, v[134:137] offset:32
	;; [unrolled: 1-line block ×10, first 2 shown]
	v_add_co_ci_u32_e64 v8, null, 0, 0, s0
	v_mul_u32_u24_e32 v8, 11, v204
	scratch_store_b32 off, v8, off offset:612 ; 4-byte Folded Spill
	v_add_f64 v[118:119], v[184:185], v[118:119]
	s_and_saveexec_b32 s0, vcc_lo
	s_cbranch_execz .LBB0_7
; %bb.6:
	v_add_f64 v[10:11], v[56:57], v[60:61]
	v_mul_f64 v[12:13], v[54:55], s[18:19]
	v_mul_f64 v[14:15], v[36:37], s[18:19]
	;; [unrolled: 1-line block ×3, first 2 shown]
	v_add_f64 v[8:9], v[58:59], v[62:63]
	v_mul_f64 v[54:55], v[54:55], s[8:9]
	v_mul_f64 v[60:61], v[52:53], s[16:17]
	;; [unrolled: 1-line block ×5, first 2 shown]
	v_add_f64 v[10:11], v[10:11], v[64:65]
	v_add_f64 v[12:13], v[128:129], v[12:13]
	v_add_f64 v[14:15], v[14:15], -v[124:125]
	v_add_f64 v[24:25], v[36:37], -v[24:25]
	v_mul_f64 v[36:37], v[46:47], s[14:15]
	v_add_f64 v[44:45], v[44:45], v[54:55]
	v_mul_f64 v[54:55], v[50:51], s[14:15]
	v_mul_f64 v[50:51], v[50:51], s[12:13]
	v_add_f64 v[60:61], v[126:127], v[60:61]
	v_add_f64 v[20:21], v[38:39], -v[20:21]
	v_add_f64 v[32:33], v[32:33], v[52:53]
	v_mul_f64 v[52:53], v[48:49], s[16:17]
	v_mul_f64 v[48:49], v[48:49], s[14:15]
	v_add_f64 v[8:9], v[8:9], v[66:67]
	v_mul_f64 v[46:47], v[46:47], s[12:13]
	v_add_f64 v[62:63], v[62:63], -v[114:115]
	v_add_f64 v[10:11], v[10:11], v[72:73]
	v_add_f64 v[12:13], v[58:59], v[12:13]
	;; [unrolled: 1-line block ×4, first 2 shown]
	v_add_f64 v[22:23], v[36:37], -v[22:23]
	v_add_f64 v[38:39], v[58:59], v[44:45]
	v_mul_f64 v[44:45], v[40:41], s[16:17]
	v_add_f64 v[50:51], v[112:113], v[50:51]
	v_add_f64 v[30:31], v[30:31], v[54:55]
	v_mul_f64 v[36:37], v[42:43], s[12:13]
	v_mul_f64 v[40:41], v[40:41], s[14:15]
	v_add_f64 v[26:27], v[26:27], v[52:53]
	v_add_f64 v[8:9], v[8:9], v[74:75]
	v_add_f64 v[46:47], v[46:47], -v[110:111]
	v_add_f64 v[10:11], v[10:11], v[76:77]
	v_add_f64 v[12:13], v[60:61], v[12:13]
	;; [unrolled: 1-line block ×4, first 2 shown]
	v_mul_f64 v[24:25], v[34:35], s[12:13]
	v_add_f64 v[32:33], v[32:33], v[38:39]
	v_mul_f64 v[38:39], v[42:43], s[8:9]
	v_add_f64 v[42:43], v[108:109], v[48:49]
	v_add_f64 v[16:17], v[44:45], -v[16:17]
	v_mul_f64 v[34:35], v[34:35], s[8:9]
	v_add_f64 v[40:41], v[40:41], -v[70:71]
	v_add_f64 v[28:29], v[28:29], v[36:37]
	v_add_f64 v[8:9], v[8:9], v[78:79]
	;; [unrolled: 1-line block ×6, first 2 shown]
	v_add_f64 v[24:25], v[24:25], -v[18:19]
	v_add_f64 v[30:31], v[30:31], v[32:33]
	v_add_f64 v[22:23], v[106:107], v[38:39]
	v_add_f64 v[32:33], v[34:35], -v[68:69]
	v_add_f64 v[8:9], v[8:9], v[94:95]
	v_add_f64 v[10:11], v[10:11], v[88:89]
	;; [unrolled: 1-line block ×8, first 2 shown]
	s_delay_alu instid0(VALU_DEP_2) | instskip(NEXT) | instid1(VALU_DEP_2)
	v_add_f64 v[8:9], v[8:9], v[86:87]
	v_add_f64 v[10:11], v[10:11], v[80:81]
	s_delay_alu instid0(VALU_DEP_2) | instskip(NEXT) | instid1(VALU_DEP_2)
	v_add_f64 v[8:9], v[8:9], v[82:83]
	v_add_f64 v[30:31], v[10:11], v[96:97]
	;; [unrolled: 1-line block ×4, first 2 shown]
	v_mul_u32_u24_e32 v20, 11, v204
	s_delay_alu instid0(VALU_DEP_1)
	v_lshlrev_b32_e32 v20, 4, v20
	ds_store_b128 v20, v[4:7] offset:64
	ds_store_b128 v20, v[116:119] offset:80
	scratch_load_b128 v[21:24], off, off offset:64 ; 16-byte Folded Reload
	v_add_f64 v[26:27], v[8:9], v[98:99]
	v_add_f64 v[8:9], v[32:33], v[14:15]
	v_add_f64 v[14:15], v[28:29], v[18:19]
	v_add_f64 v[16:17], v[30:31], v[100:101]
	s_delay_alu instid0(VALU_DEP_4)
	v_add_f64 v[18:19], v[26:27], v[102:103]
	s_waitcnt vmcnt(0)
	ds_store_b128 v20, v[21:24] offset:96
	scratch_load_b128 v[21:24], off, off offset:48 ; 16-byte Folded Reload
	s_waitcnt vmcnt(0)
	ds_store_b128 v20, v[21:24] offset:112
	scratch_load_b128 v[21:24], off, off offset:32 ; 16-byte Folded Reload
	;; [unrolled: 3-line block ×3, first 2 shown]
	s_waitcnt vmcnt(0)
	ds_store_b128 v20, v[21:24] offset:144
	ds_store_b128 v20, v[8:11] offset:32
	;; [unrolled: 1-line block ×3, first 2 shown]
	ds_store_b128 v20, v[16:19]
	ds_store_b128 v20, v[12:15] offset:16
	scratch_load_b128 v[8:11], off, off     ; 16-byte Folded Reload
	s_waitcnt vmcnt(0)
	ds_store_b128 v20, v[8:11] offset:160
.LBB0_7:
	s_or_b32 exec_lo, exec_lo, s0
	s_waitcnt lgkmcnt(0)
	s_waitcnt_vscnt null, 0x0
	s_barrier
	buffer_gl0_inv
	ds_load_b128 v[8:11], v120
	ds_load_b128 v[12:15], v120 offset:1760
	ds_load_b128 v[36:39], v120 offset:14960
	;; [unrolled: 1-line block ×13, first 2 shown]
	v_cmp_gt_u16_e64 s0, 55, v202
	s_delay_alu instid0(VALU_DEP_1)
	s_and_saveexec_b32 s1, s0
	s_cbranch_execz .LBB0_9
; %bb.8:
	ds_load_b128 v[0:3], v120 offset:12320
	ds_load_b128 v[4:7], v120 offset:25520
.LBB0_9:
	s_or_b32 exec_lo, exec_lo, s1
	v_and_b32_e32 v45, 0xff, v202
	v_and_b32_e32 v44, 0xff, v204
	v_add_co_u32 v106, s1, 0xdc, v202
	v_add_co_u32 v47, null, 0x14a, v202
	s_delay_alu instid0(VALU_DEP_4) | instskip(NEXT) | instid1(VALU_DEP_4)
	v_mul_lo_u16 v45, 0x75, v45
	v_mul_lo_u16 v46, 0x75, v44
	v_add_co_u32 v51, null, 0x226, v202
	v_add_co_u32 v53, null, 0x294, v202
	s_delay_alu instid0(VALU_DEP_4) | instskip(NEXT) | instid1(VALU_DEP_4)
	v_lshrrev_b16 v48, 8, v45
	v_lshrrev_b16 v49, 8, v46
	v_add_co_u32 v46, null, 0x1b8, v202
	v_and_b32_e32 v54, 0xffff, v47
	s_delay_alu instid0(VALU_DEP_4) | instskip(NEXT) | instid1(VALU_DEP_4)
	v_sub_nc_u16 v45, v202, v48
	v_sub_nc_u16 v50, v204, v49
	s_delay_alu instid0(VALU_DEP_4)
	v_and_b32_e32 v55, 0xffff, v46
	v_and_b32_e32 v56, 0xffff, v51
	;; [unrolled: 1-line block ×3, first 2 shown]
	v_lshrrev_b16 v52, 1, v45
	v_lshrrev_b16 v50, 1, v50
	v_and_b32_e32 v45, 0xffff, v106
	v_add_co_ci_u32_e64 v107, null, 0, 0, s1
	s_delay_alu instid0(VALU_DEP_4) | instskip(NEXT) | instid1(VALU_DEP_4)
	v_and_b32_e32 v52, 0x7f, v52
	v_and_b32_e32 v50, 0x7f, v50
	s_delay_alu instid0(VALU_DEP_2) | instskip(NEXT) | instid1(VALU_DEP_2)
	v_add_nc_u16 v52, v52, v48
	v_add_nc_u16 v58, v50, v49
	v_mul_u32_u24_e32 v48, 0xba2f, v55
	v_mul_u32_u24_e32 v50, 0xba2f, v45
	;; [unrolled: 1-line block ×3, first 2 shown]
	v_lshrrev_b16 v55, 3, v52
	v_lshrrev_b16 v58, 3, v58
	v_mul_u32_u24_e32 v52, 0xba2f, v56
	v_mul_u32_u24_e32 v54, 0xba2f, v57
	v_lshrrev_b32_e32 v56, 19, v50
	v_mul_lo_u16 v57, v55, 11
	v_mul_lo_u16 v59, v58, 11
	v_lshrrev_b32_e32 v92, 19, v49
	v_lshrrev_b32_e32 v93, 19, v48
	;; [unrolled: 1-line block ×3, first 2 shown]
	v_sub_nc_u16 v52, v202, v57
	v_sub_nc_u16 v57, v204, v59
	v_lshrrev_b32_e32 v59, 19, v54
	v_mul_lo_u16 v54, v56, 11
	v_mul_lo_u16 v68, v92, 11
	v_and_b32_e32 v95, 0xff, v52
	v_mul_lo_u16 v52, v93, 11
	v_mul_lo_u16 v69, v94, 11
	v_sub_nc_u16 v96, v106, v54
	v_sub_nc_u16 v97, v47, v68
	v_mul_lo_u16 v70, v59, 11
	v_sub_nc_u16 v98, v46, v52
	v_sub_nc_u16 v99, v51, v69
	v_and_b32_e32 v52, 0xffff, v96
	v_and_b32_e32 v51, 0xffff, v97
	;; [unrolled: 1-line block ×3, first 2 shown]
	v_sub_nc_u16 v100, v53, v70
	v_and_b32_e32 v53, 0xffff, v98
	v_lshlrev_b32_e32 v71, 4, v95
	v_lshlrev_b32_e32 v52, 4, v52
	v_and_b32_e32 v54, 0xffff, v99
	v_lshlrev_b32_e32 v51, 4, v51
	v_lshlrev_b32_e32 v84, 4, v57
	v_and_b32_e32 v68, 0xffff, v100
	v_lshlrev_b32_e32 v53, 4, v53
	s_clause 0x3
	global_load_b128 v[144:147], v71, s[2:3]
	global_load_b128 v[136:139], v84, s[2:3]
	;; [unrolled: 1-line block ×4, first 2 shown]
	v_lshlrev_b32_e32 v52, 4, v54
	v_lshlrev_b32_e32 v51, 4, v68
	s_clause 0x1
	global_load_b128 v[148:151], v53, s[2:3]
	global_load_b128 v[140:143], v52, s[2:3]
	v_add_nc_u16 v52, v202, 0x302
	global_load_b128 v[160:163], v51, s[2:3]
	v_mad_u16 v56, v56, 22, v96
	v_and_b32_e32 v55, 0xffff, v55
	v_and_b32_e32 v58, 0xffff, v58
	;; [unrolled: 1-line block ×3, first 2 shown]
	s_delay_alu instid0(VALU_DEP_1) | instskip(NEXT) | instid1(VALU_DEP_1)
	v_mul_u32_u24_e32 v51, 0xba2f, v51
	v_lshrrev_b32_e32 v101, 19, v51
	s_delay_alu instid0(VALU_DEP_1) | instskip(NEXT) | instid1(VALU_DEP_1)
	v_mul_lo_u16 v51, v101, 11
	v_sub_nc_u16 v102, v52, v51
	s_delay_alu instid0(VALU_DEP_1) | instskip(NEXT) | instid1(VALU_DEP_1)
	v_and_b32_e32 v51, 0xffff, v102
	v_lshlrev_b32_e32 v51, 4, v51
	global_load_b128 v[112:115], v51, s[2:3]
	s_waitcnt vmcnt(7) lgkmcnt(3)
	v_mul_f64 v[51:52], v[82:83], v[146:147]
	v_mul_f64 v[53:54], v[80:81], v[146:147]
	s_waitcnt vmcnt(6)
	v_mul_f64 v[68:69], v[38:39], v[138:139]
	v_mul_f64 v[70:71], v[36:37], v[138:139]
	s_waitcnt vmcnt(5)
	;; [unrolled: 3-line block ×3, first 2 shown]
	v_mul_f64 v[88:89], v[62:63], v[154:155]
	v_mul_f64 v[90:91], v[60:61], v[154:155]
	s_waitcnt vmcnt(2) lgkmcnt(1)
	v_mul_f64 v[128:129], v[78:79], v[142:143]
	v_mul_f64 v[130:131], v[76:77], v[142:143]
	;; [unrolled: 1-line block ×4, first 2 shown]
	s_waitcnt vmcnt(1) lgkmcnt(0)
	v_mul_f64 v[132:133], v[74:75], v[162:163]
	v_mul_f64 v[134:135], v[72:73], v[162:163]
	s_clause 0x1
	scratch_store_b128 off, v[136:139], off offset:372
	scratch_store_b128 off, v[140:143], off offset:388
	v_mad_u16 v139, v101, 22, v102
	s_clause 0x4
	scratch_store_b128 off, v[144:147], off offset:404
	scratch_store_b128 off, v[148:151], off offset:420
	;; [unrolled: 1-line block ×5, first 2 shown]
	s_waitcnt vmcnt(0)
	s_waitcnt_vscnt null, 0x0
	s_barrier
	buffer_gl0_inv
	v_fma_f64 v[51:52], v[80:81], v[144:145], -v[51:52]
	v_fma_f64 v[53:54], v[82:83], v[144:145], v[53:54]
	v_fma_f64 v[68:69], v[36:37], v[136:137], -v[68:69]
	v_fma_f64 v[70:71], v[38:39], v[136:137], v[70:71]
	;; [unrolled: 2-line block ×5, first 2 shown]
	v_fma_f64 v[64:65], v[64:65], v[148:149], -v[124:125]
	v_mul_f64 v[84:85], v[6:7], v[114:115]
	v_mul_f64 v[86:87], v[4:5], v[114:115]
	v_fma_f64 v[66:67], v[66:67], v[148:149], v[126:127]
	v_fma_f64 v[72:73], v[72:73], v[160:161], -v[132:133]
	v_fma_f64 v[74:75], v[74:75], v[160:161], v[134:135]
	v_add_f64 v[36:37], v[8:9], -v[51:52]
	v_add_f64 v[38:39], v[10:11], -v[53:54]
	;; [unrolled: 1-line block ×11, first 2 shown]
	v_fma_f64 v[76:77], v[4:5], v[112:113], -v[84:85]
	v_fma_f64 v[78:79], v[6:7], v[112:113], v[86:87]
	v_add_f64 v[66:67], v[30:31], -v[66:67]
	v_add_f64 v[72:73], v[32:33], -v[72:73]
	;; [unrolled: 1-line block ×3, first 2 shown]
	v_mad_u16 v80, v92, 22, v97
	v_fma_f64 v[4:5], v[8:9], 2.0, -v[36:37]
	v_fma_f64 v[6:7], v[10:11], 2.0, -v[38:39]
	;; [unrolled: 1-line block ×11, first 2 shown]
	v_add_f64 v[196:197], v[0:1], -v[76:77]
	v_add_f64 v[198:199], v[2:3], -v[78:79]
	v_fma_f64 v[22:23], v[30:31], 2.0, -v[66:67]
	v_fma_f64 v[28:29], v[32:33], 2.0, -v[72:73]
	;; [unrolled: 1-line block ×3, first 2 shown]
	v_mad_u16 v32, v93, 22, v98
	v_mad_u16 v33, v94, 22, v99
	;; [unrolled: 1-line block ×3, first 2 shown]
	v_and_b32_e32 v35, 0xffff, v56
	v_and_b32_e32 v56, 0xffff, v80
	;; [unrolled: 1-line block ×5, first 2 shown]
	v_lshlrev_b32_e32 v142, 4, v35
	v_mul_u32_u24_e32 v35, 22, v55
	v_mul_u32_u24_e32 v55, 22, v58
	v_lshlrev_b32_e32 v141, 4, v56
	v_lshlrev_b32_e32 v134, 4, v32
	;; [unrolled: 1-line block ×4, first 2 shown]
	v_add_lshl_u32 v140, v35, v95, 4
	v_add_lshl_u32 v200, v55, v57, 4
	ds_store_b128 v140, v[4:7]
	ds_store_b128 v140, v[36:39] offset:176
	ds_store_b128 v200, v[8:11]
	ds_store_b128 v200, v[40:43] offset:176
	;; [unrolled: 2-line block ×7, first 2 shown]
	s_and_saveexec_b32 s1, s0
	s_cbranch_execz .LBB0_11
; %bb.10:
	v_fma_f64 v[2:3], v[2:3], 2.0, -v[198:199]
	v_fma_f64 v[0:1], v[0:1], 2.0, -v[196:197]
	v_and_b32_e32 v4, 0xffff, v139
	s_delay_alu instid0(VALU_DEP_1)
	v_lshlrev_b32_e32 v4, 4, v4
	ds_store_b128 v4, v[0:3]
	ds_store_b128 v4, v[196:199] offset:176
.LBB0_11:
	s_or_b32 exec_lo, exec_lo, s1
	v_lshrrev_b32_e32 v0, 20, v50
	s_waitcnt lgkmcnt(0)
	s_barrier
	buffer_gl0_inv
	s_mov_b32 s8, 0xe8584caa
	v_mul_lo_u16 v1, v0, 22
	s_mov_b32 s9, 0x3febb67a
	s_mov_b32 s13, 0xbfebb67a
	;; [unrolled: 1-line block ×4, first 2 shown]
	v_sub_nc_u16 v1, v106, v1
	s_mov_b32 s15, 0x3fee6f0e
	s_mov_b32 s17, 0xbfee6f0e
	s_mov_b32 s16, s14
	s_mov_b32 s18, 0x372fe950
	v_lshlrev_b16 v2, 5, v1
	v_mad_u16 v0, 0x42, v0, v1
	s_mov_b32 s19, 0x3fd3c6ef
	s_delay_alu instid0(VALU_DEP_2) | instskip(NEXT) | instid1(VALU_DEP_2)
	v_and_b32_e32 v2, 0xffff, v2
	v_and_b32_e32 v0, 0xffff, v0
	s_delay_alu instid0(VALU_DEP_2) | instskip(NEXT) | instid1(VALU_DEP_1)
	v_add_co_u32 v2, s1, s2, v2
	v_add_co_ci_u32_e64 v3, null, s3, 0, s1
	s_delay_alu instid0(VALU_DEP_3) | instskip(SKIP_4) | instid1(VALU_DEP_1)
	v_lshlrev_b32_e32 v170, 4, v0
	s_clause 0x1
	global_load_b128 v[128:131], v[2:3], off offset:176
	global_load_b128 v[124:127], v[2:3], off offset:192
	v_lshrrev_b32_e32 v2, 20, v49
	v_mul_lo_u16 v3, v2, 22
	s_delay_alu instid0(VALU_DEP_1) | instskip(NEXT) | instid1(VALU_DEP_1)
	v_sub_nc_u16 v3, v47, v3
	v_lshlrev_b16 v4, 5, v3
	v_mad_u16 v0, 0x42, v2, v3
	s_delay_alu instid0(VALU_DEP_2) | instskip(NEXT) | instid1(VALU_DEP_2)
	v_and_b32_e32 v4, 0xffff, v4
	v_and_b32_e32 v0, 0xffff, v0
	s_delay_alu instid0(VALU_DEP_2) | instskip(NEXT) | instid1(VALU_DEP_1)
	v_add_co_u32 v4, s1, s2, v4
	v_add_co_ci_u32_e64 v5, null, s3, 0, s1
	s_delay_alu instid0(VALU_DEP_3) | instskip(SKIP_4) | instid1(VALU_DEP_1)
	v_lshlrev_b32_e32 v169, 4, v0
	s_clause 0x1
	global_load_b128 v[36:39], v[4:5], off offset:176
	global_load_b128 v[40:43], v[4:5], off offset:192
	v_lshrrev_b32_e32 v4, 20, v48
	v_mul_lo_u16 v5, v4, 22
	s_delay_alu instid0(VALU_DEP_1) | instskip(NEXT) | instid1(VALU_DEP_1)
	v_sub_nc_u16 v5, v46, v5
	v_lshlrev_b16 v6, 5, v5
	v_mad_u16 v0, 0x42, v4, v5
	s_delay_alu instid0(VALU_DEP_2) | instskip(NEXT) | instid1(VALU_DEP_2)
	v_and_b32_e32 v6, 0xffff, v6
	v_and_b32_e32 v0, 0xffff, v0
	s_delay_alu instid0(VALU_DEP_2) | instskip(NEXT) | instid1(VALU_DEP_1)
	v_add_co_u32 v6, s1, s2, v6
	v_add_co_ci_u32_e64 v7, null, s3, 0, s1
	v_add_co_u32 v1, s1, 0xffffffbe, v202
	s_clause 0x1
	global_load_b128 v[46:49], v[6:7], off offset:176
	global_load_b128 v[50:53], v[6:7], off offset:192
	ds_load_b128 v[6:9], v120 offset:12320
	ds_load_b128 v[10:13], v120 offset:21120
	;; [unrolled: 1-line block ×5, first 2 shown]
	v_add_co_ci_u32_e64 v2, null, 0, -1, s1
	v_cmp_gt_u16_e64 s1, 0x42, v202
	v_lshlrev_b32_e32 v173, 4, v0
	s_delay_alu instid0(VALU_DEP_2) | instskip(NEXT) | instid1(VALU_DEP_4)
	v_cndmask_b32_e64 v4, v1, v202, s1
	v_cndmask_b32_e64 v5, v2, 0, s1
	s_delay_alu instid0(VALU_DEP_1) | instskip(NEXT) | instid1(VALU_DEP_1)
	v_lshlrev_b64 v[0:1], 6, v[4:5]
	v_add_co_u32 v5, s1, s2, v0
	s_waitcnt vmcnt(5) lgkmcnt(4)
	v_mul_f64 v[26:27], v[8:9], v[130:131]
	v_mul_f64 v[28:29], v[6:7], v[130:131]
	s_waitcnt vmcnt(4) lgkmcnt(3)
	v_mul_f64 v[30:31], v[12:13], v[126:127]
	v_mul_f64 v[32:33], v[10:11], v[126:127]
	s_waitcnt vmcnt(3)
	scratch_store_b128 off, v[36:39], off offset:308 ; 16-byte Folded Spill
	s_waitcnt vmcnt(2)
	scratch_store_b128 off, v[40:43], off offset:324 ; 16-byte Folded Spill
	v_fma_f64 v[26:27], v[6:7], v[128:129], -v[26:27]
	v_fma_f64 v[28:29], v[8:9], v[128:129], v[28:29]
	ds_load_b128 v[6:9], v120 offset:15840
	v_fma_f64 v[30:31], v[10:11], v[124:125], -v[30:31]
	v_fma_f64 v[32:33], v[12:13], v[124:125], v[32:33]
	s_waitcnt lgkmcnt(2)
	v_mul_f64 v[10:11], v[24:25], v[38:39]
	v_mul_f64 v[12:13], v[22:23], v[38:39]
	s_waitcnt vmcnt(1)
	scratch_store_b128 off, v[46:49], off offset:484 ; 16-byte Folded Spill
	s_waitcnt vmcnt(0)
	scratch_store_b128 off, v[50:53], off offset:500 ; 16-byte Folded Spill
	v_fma_f64 v[34:35], v[22:23], v[36:37], -v[10:11]
	v_fma_f64 v[36:37], v[24:25], v[36:37], v[12:13]
	s_waitcnt lgkmcnt(1)
	v_mul_f64 v[10:11], v[20:21], v[42:43]
	v_mul_f64 v[12:13], v[18:19], v[42:43]
	v_add_f64 v[22:23], v[28:29], -v[32:33]
	s_delay_alu instid0(VALU_DEP_3) | instskip(NEXT) | instid1(VALU_DEP_3)
	v_fma_f64 v[38:39], v[18:19], v[40:41], -v[10:11]
	v_fma_f64 v[40:41], v[20:21], v[40:41], v[12:13]
	s_waitcnt lgkmcnt(0)
	v_mul_f64 v[10:11], v[8:9], v[48:49]
	v_mul_f64 v[12:13], v[6:7], v[48:49]
	s_delay_alu instid0(VALU_DEP_2) | instskip(NEXT) | instid1(VALU_DEP_2)
	v_fma_f64 v[42:43], v[6:7], v[46:47], -v[10:11]
	v_fma_f64 v[54:55], v[8:9], v[46:47], v[12:13]
	ds_load_b128 v[6:9], v120 offset:24640
	s_waitcnt lgkmcnt(0)
	v_mul_f64 v[10:11], v[8:9], v[52:53]
	s_delay_alu instid0(VALU_DEP_1) | instskip(SKIP_1) | instid1(VALU_DEP_1)
	v_fma_f64 v[68:69], v[6:7], v[50:51], -v[10:11]
	v_mul_f64 v[6:7], v[6:7], v[52:53]
	v_fma_f64 v[70:71], v[8:9], v[50:51], v[6:7]
	v_lshrrev_b16 v6, 1, v44
	s_delay_alu instid0(VALU_DEP_1) | instskip(NEXT) | instid1(VALU_DEP_1)
	v_mul_lo_u16 v6, 0xbb, v6
	v_lshrrev_b16 v56, 11, v6
	s_delay_alu instid0(VALU_DEP_1) | instskip(NEXT) | instid1(VALU_DEP_1)
	v_mul_lo_u16 v6, v56, 22
	v_sub_nc_u16 v6, v204, v6
	s_delay_alu instid0(VALU_DEP_1) | instskip(NEXT) | instid1(VALU_DEP_1)
	v_and_b32_e32 v57, 0xff, v6
	v_lshlrev_b32_e32 v6, 5, v57
	s_clause 0x1
	global_load_b128 v[144:147], v6, s[2:3] offset:176
	global_load_b128 v[148:151], v6, s[2:3] offset:192
	s_waitcnt vmcnt(1)
	v_mul_f64 v[6:7], v[16:17], v[146:147]
	s_delay_alu instid0(VALU_DEP_1) | instskip(SKIP_1) | instid1(VALU_DEP_1)
	v_fma_f64 v[46:47], v[14:15], v[144:145], -v[6:7]
	v_mul_f64 v[6:7], v[14:15], v[146:147]
	v_fma_f64 v[48:49], v[16:17], v[144:145], v[6:7]
	ds_load_b128 v[6:9], v120 offset:19360
	ds_load_b128 v[10:13], v120 offset:17600
	s_waitcnt vmcnt(0) lgkmcnt(1)
	v_mul_f64 v[14:15], v[8:9], v[150:151]
	s_delay_alu instid0(VALU_DEP_1) | instskip(SKIP_1) | instid1(VALU_DEP_2)
	v_fma_f64 v[50:51], v[6:7], v[148:149], -v[14:15]
	v_mul_f64 v[6:7], v[6:7], v[150:151]
	v_add_f64 v[72:73], v[46:47], v[50:51]
	s_delay_alu instid0(VALU_DEP_2) | instskip(SKIP_1) | instid1(VALU_DEP_1)
	v_fma_f64 v[52:53], v[8:9], v[148:149], v[6:7]
	v_lshrrev_b16 v6, 1, v202
	v_and_b32_e32 v6, 0x7f, v6
	s_delay_alu instid0(VALU_DEP_1) | instskip(NEXT) | instid1(VALU_DEP_1)
	v_mul_lo_u16 v6, 0xbb, v6
	v_lshrrev_b16 v58, 11, v6
	s_delay_alu instid0(VALU_DEP_1) | instskip(NEXT) | instid1(VALU_DEP_1)
	v_mul_lo_u16 v6, v58, 22
	v_sub_nc_u16 v6, v202, v6
	s_delay_alu instid0(VALU_DEP_1) | instskip(NEXT) | instid1(VALU_DEP_1)
	v_and_b32_e32 v59, 0xff, v6
	v_lshlrev_b32_e32 v6, 5, v59
	s_clause 0x1
	global_load_b128 v[156:159], v6, s[2:3] offset:176
	global_load_b128 v[152:155], v6, s[2:3] offset:192
	ds_load_b128 v[6:9], v120 offset:8800
	ds_load_b128 v[14:17], v120 offset:7040
	v_add_f64 v[74:75], v[48:49], v[52:53]
	s_waitcnt vmcnt(1) lgkmcnt(1)
	v_mul_f64 v[18:19], v[8:9], v[158:159]
	s_delay_alu instid0(VALU_DEP_1) | instskip(SKIP_2) | instid1(VALU_DEP_2)
	v_fma_f64 v[60:61], v[6:7], v[156:157], -v[18:19]
	v_mul_f64 v[6:7], v[6:7], v[158:159]
	v_add_f64 v[18:19], v[26:27], v[30:31]
	v_fma_f64 v[62:63], v[8:9], v[156:157], v[6:7]
	s_waitcnt vmcnt(0)
	v_mul_f64 v[6:7], v[12:13], v[154:155]
	s_delay_alu instid0(VALU_DEP_1) | instskip(SKIP_1) | instid1(VALU_DEP_1)
	v_fma_f64 v[64:65], v[10:11], v[152:153], -v[6:7]
	v_mul_f64 v[6:7], v[10:11], v[154:155]
	v_fma_f64 v[66:67], v[12:13], v[152:153], v[6:7]
	ds_load_b128 v[6:9], v120 offset:3520
	ds_load_b128 v[10:13], v120 offset:5280
	s_waitcnt lgkmcnt(1)
	v_fma_f64 v[20:21], v[18:19], -0.5, v[6:7]
	v_add_f64 v[18:19], v[28:29], v[32:33]
	v_add_f64 v[6:7], v[6:7], v[26:27]
	v_add_f64 v[26:27], v[26:27], -v[30:31]
	s_delay_alu instid0(VALU_DEP_3)
	v_fma_f64 v[24:25], v[18:19], -0.5, v[8:9]
	v_fma_f64 v[18:19], v[22:23], s[8:9], v[20:21]
	v_fma_f64 v[22:23], v[22:23], s[12:13], v[20:21]
	v_add_f64 v[8:9], v[8:9], v[28:29]
	v_add_f64 v[6:7], v[6:7], v[30:31]
	v_add_f64 v[30:31], v[36:37], -v[40:41]
	v_fma_f64 v[20:21], v[26:27], s[12:13], v[24:25]
	v_fma_f64 v[24:25], v[26:27], s[8:9], v[24:25]
	v_add_f64 v[26:27], v[34:35], v[38:39]
	v_add_f64 v[8:9], v[8:9], v[32:33]
	s_waitcnt lgkmcnt(0)
	s_delay_alu instid0(VALU_DEP_2) | instskip(SKIP_3) | instid1(VALU_DEP_3)
	v_fma_f64 v[28:29], v[26:27], -0.5, v[10:11]
	v_add_f64 v[26:27], v[36:37], v[40:41]
	v_add_f64 v[10:11], v[10:11], v[34:35]
	v_add_f64 v[34:35], v[34:35], -v[38:39]
	v_fma_f64 v[32:33], v[26:27], -0.5, v[12:13]
	v_add_f64 v[12:13], v[12:13], v[36:37]
	s_delay_alu instid0(VALU_DEP_4)
	v_add_f64 v[10:11], v[10:11], v[38:39]
	v_fma_f64 v[26:27], v[30:31], s[8:9], v[28:29]
	v_fma_f64 v[30:31], v[30:31], s[12:13], v[28:29]
	;; [unrolled: 1-line block ×3, first 2 shown]
	v_add_f64 v[12:13], v[12:13], v[40:41]
	v_fma_f64 v[32:33], v[34:35], s[8:9], v[32:33]
	ds_load_b128 v[34:37], v120 offset:1760
	ds_load_b128 v[38:41], v120
	s_waitcnt lgkmcnt(0)
	s_waitcnt_vscnt null, 0x0
	s_barrier
	buffer_gl0_inv
	v_fma_f64 v[74:75], v[74:75], -0.5, v[36:37]
	v_add_f64 v[36:37], v[36:37], v[48:49]
	v_fma_f64 v[72:73], v[72:73], -0.5, v[34:35]
	v_add_f64 v[34:35], v[34:35], v[46:47]
	v_add_f64 v[48:49], v[48:49], -v[52:53]
	s_delay_alu instid0(VALU_DEP_4) | instskip(SKIP_1) | instid1(VALU_DEP_4)
	v_add_f64 v[36:37], v[36:37], v[52:53]
	v_add_f64 v[52:53], v[46:47], -v[50:51]
	v_add_f64 v[34:35], v[34:35], v[50:51]
	s_delay_alu instid0(VALU_DEP_4)
	v_fma_f64 v[46:47], v[48:49], s[8:9], v[72:73]
	v_fma_f64 v[50:51], v[48:49], s[12:13], v[72:73]
	v_add_f64 v[72:73], v[60:61], v[64:65]
	v_fma_f64 v[48:49], v[52:53], s[12:13], v[74:75]
	v_fma_f64 v[52:53], v[52:53], s[8:9], v[74:75]
	v_add_f64 v[74:75], v[62:63], v[66:67]
	s_delay_alu instid0(VALU_DEP_4) | instskip(SKIP_1) | instid1(VALU_DEP_3)
	v_fma_f64 v[72:73], v[72:73], -0.5, v[38:39]
	v_add_f64 v[38:39], v[38:39], v[60:61]
	v_fma_f64 v[74:75], v[74:75], -0.5, v[40:41]
	v_add_f64 v[40:41], v[40:41], v[62:63]
	v_add_f64 v[62:63], v[62:63], -v[66:67]
	s_delay_alu instid0(VALU_DEP_4) | instskip(NEXT) | instid1(VALU_DEP_3)
	v_add_f64 v[38:39], v[38:39], v[64:65]
	v_add_f64 v[40:41], v[40:41], v[66:67]
	v_add_f64 v[66:67], v[60:61], -v[64:65]
	s_delay_alu instid0(VALU_DEP_4) | instskip(SKIP_2) | instid1(VALU_DEP_4)
	v_fma_f64 v[60:61], v[62:63], s[8:9], v[72:73]
	v_fma_f64 v[64:65], v[62:63], s[12:13], v[72:73]
	v_add_f64 v[72:73], v[42:43], v[68:69]
	v_fma_f64 v[62:63], v[66:67], s[12:13], v[74:75]
	v_fma_f64 v[66:67], v[66:67], s[8:9], v[74:75]
	v_add_f64 v[74:75], v[54:55], v[70:71]
	s_delay_alu instid0(VALU_DEP_4) | instskip(SKIP_2) | instid1(VALU_DEP_4)
	v_fma_f64 v[72:73], v[72:73], -0.5, v[14:15]
	v_add_f64 v[14:15], v[14:15], v[42:43]
	v_add_f64 v[42:43], v[42:43], -v[68:69]
	v_fma_f64 v[74:75], v[74:75], -0.5, v[16:17]
	v_add_f64 v[16:17], v[16:17], v[54:55]
	v_add_f64 v[54:55], v[54:55], -v[70:71]
	v_add_f64 v[14:15], v[14:15], v[68:69]
	s_delay_alu instid0(VALU_DEP_3) | instskip(NEXT) | instid1(VALU_DEP_3)
	v_add_f64 v[16:17], v[16:17], v[70:71]
	v_fma_f64 v[68:69], v[54:55], s[8:9], v[72:73]
	v_fma_f64 v[70:71], v[42:43], s[12:13], v[74:75]
	;; [unrolled: 1-line block ×4, first 2 shown]
	v_and_b32_e32 v42, 0xffff, v58
	s_mov_b32 s8, 0x4755a5e
	s_mov_b32 s9, 0x3fe2cf23
	;; [unrolled: 1-line block ×4, first 2 shown]
	v_mul_u32_u24_e32 v42, 0x42, v42
	s_delay_alu instid0(VALU_DEP_1) | instskip(SKIP_4) | instid1(VALU_DEP_1)
	v_add_lshl_u32 v168, v42, v59, 4
	ds_store_b128 v168, v[38:41]
	ds_store_b128 v168, v[60:63] offset:352
	ds_store_b128 v168, v[64:67] offset:704
	v_and_b32_e32 v38, 0xffff, v56
	v_mul_u32_u24_e32 v38, 0x42, v38
	s_delay_alu instid0(VALU_DEP_1)
	v_add_lshl_u32 v171, v38, v57, 4
	ds_store_b128 v171, v[34:37]
	ds_store_b128 v171, v[46:49] offset:352
	ds_store_b128 v171, v[50:53] offset:704
	ds_store_b128 v170, v[6:9]
	ds_store_b128 v170, v[18:21] offset:352
	ds_store_b128 v170, v[22:25] offset:704
	v_add_co_ci_u32_e64 v6, s1, s3, v1, s1
	ds_store_b128 v169, v[10:13]
	ds_store_b128 v169, v[26:29] offset:352
	ds_store_b128 v169, v[30:33] offset:704
	ds_store_b128 v173, v[14:17]
	ds_store_b128 v173, v[68:71] offset:352
	ds_store_b128 v173, v[72:75] offset:704
	s_waitcnt lgkmcnt(0)
	s_barrier
	buffer_gl0_inv
	s_clause 0x1
	global_load_b128 v[13:16], v[5:6], off offset:880
	global_load_b128 v[17:20], v[5:6], off offset:896
	ds_load_b128 v[0:3], v120 offset:5280
	ds_load_b128 v[7:10], v120 offset:3520
	s_waitcnt vmcnt(1) lgkmcnt(1)
	v_mul_f64 v[11:12], v[2:3], v[15:16]
	scratch_store_b128 off, v[13:16], off offset:356 ; 16-byte Folded Spill
	v_fma_f64 v[27:28], v[0:1], v[13:14], -v[11:12]
	v_mul_f64 v[0:1], v[0:1], v[15:16]
	s_delay_alu instid0(VALU_DEP_1)
	v_fma_f64 v[29:30], v[2:3], v[13:14], v[0:1]
	ds_load_b128 v[0:3], v120 offset:10560
	ds_load_b128 v[11:14], v120 offset:12320
	s_waitcnt vmcnt(0)
	scratch_store_b128 off, v[17:20], off offset:340 ; 16-byte Folded Spill
	s_waitcnt lgkmcnt(1)
	v_mul_f64 v[15:16], v[2:3], v[19:20]
	s_delay_alu instid0(VALU_DEP_1)
	v_fma_f64 v[31:32], v[0:1], v[17:18], -v[15:16]
	v_mul_f64 v[0:1], v[0:1], v[19:20]
	s_clause 0x1
	global_load_b128 v[19:22], v[5:6], off offset:912
	global_load_b128 v[39:42], v[5:6], off offset:928
	v_fma_f64 v[33:34], v[2:3], v[17:18], v[0:1]
	ds_load_b128 v[0:3], v120 offset:15840
	ds_load_b128 v[15:18], v120 offset:14080
	s_waitcnt vmcnt(1) lgkmcnt(1)
	v_mul_f64 v[5:6], v[2:3], v[21:22]
	scratch_store_b128 off, v[19:22], off offset:516 ; 16-byte Folded Spill
	v_fma_f64 v[5:6], v[0:1], v[19:20], -v[5:6]
	v_mul_f64 v[0:1], v[0:1], v[21:22]
	s_delay_alu instid0(VALU_DEP_2) | instskip(NEXT) | instid1(VALU_DEP_2)
	v_add_f64 v[84:85], v[31:32], -v[5:6]
	v_fma_f64 v[35:36], v[2:3], v[19:20], v[0:1]
	ds_load_b128 v[0:3], v120 offset:21120
	ds_load_b128 v[19:22], v120 offset:22880
	s_waitcnt vmcnt(0)
	scratch_store_b128 off, v[39:42], off offset:532 ; 16-byte Folded Spill
	s_waitcnt lgkmcnt(1)
	v_mul_f64 v[23:24], v[2:3], v[41:42]
	v_add_f64 v[80:81], v[33:34], -v[35:36]
	s_delay_alu instid0(VALU_DEP_2) | instskip(SKIP_1) | instid1(VALU_DEP_2)
	v_fma_f64 v[37:38], v[0:1], v[39:40], -v[23:24]
	v_mul_f64 v[0:1], v[0:1], v[41:42]
	v_add_f64 v[82:83], v[27:28], -v[37:38]
	s_delay_alu instid0(VALU_DEP_2) | instskip(SKIP_1) | instid1(VALU_DEP_1)
	v_fma_f64 v[39:40], v[2:3], v[39:40], v[0:1]
	v_mul_lo_u16 v0, 0xf9, v44
	v_lshrrev_b16 v56, 14, v0
	s_delay_alu instid0(VALU_DEP_1) | instskip(NEXT) | instid1(VALU_DEP_1)
	v_mul_lo_u16 v0, 0x42, v56
	v_sub_nc_u16 v0, v204, v0
	s_delay_alu instid0(VALU_DEP_1) | instskip(NEXT) | instid1(VALU_DEP_1)
	v_and_b32_e32 v57, 0xff, v0
	v_lshlrev_b32_e32 v50, 6, v57
	s_clause 0x1
	global_load_b128 v[46:49], v50, s[2:3] offset:880
	global_load_b128 v[51:54], v50, s[2:3] offset:896
	ds_load_b128 v[0:3], v120 offset:7040
	ds_load_b128 v[23:26], v120 offset:8800
	v_add_f64 v[78:79], v[29:30], -v[39:40]
	s_waitcnt vmcnt(1)
	scratch_store_b128 off, v[46:49], off offset:580 ; 16-byte Folded Spill
	s_waitcnt vmcnt(0)
	scratch_store_b128 off, v[51:54], off offset:548 ; 16-byte Folded Spill
	s_clause 0x1
	global_load_b128 v[176:179], v50, s[2:3] offset:912
	global_load_b128 v[58:61], v50, s[2:3] offset:928
	s_waitcnt lgkmcnt(1)
	v_mul_f64 v[41:42], v[2:3], v[48:49]
	s_delay_alu instid0(VALU_DEP_1) | instskip(SKIP_1) | instid1(VALU_DEP_1)
	v_fma_f64 v[41:42], v[0:1], v[46:47], -v[41:42]
	v_mul_f64 v[0:1], v[0:1], v[48:49]
	v_fma_f64 v[43:44], v[2:3], v[46:47], v[0:1]
	v_mul_f64 v[0:1], v[13:14], v[53:54]
	s_delay_alu instid0(VALU_DEP_1) | instskip(SKIP_1) | instid1(VALU_DEP_1)
	v_fma_f64 v[46:47], v[11:12], v[51:52], -v[0:1]
	v_mul_f64 v[0:1], v[11:12], v[53:54]
	v_fma_f64 v[48:49], v[13:14], v[51:52], v[0:1]
	ds_load_b128 v[0:3], v120 offset:17600
	ds_load_b128 v[11:14], v120 offset:19360
	s_waitcnt vmcnt(1) lgkmcnt(1)
	v_mul_f64 v[50:51], v[2:3], v[178:179]
	s_waitcnt vmcnt(0)
	scratch_store_b128 off, v[58:61], off offset:564 ; 16-byte Folded Spill
	v_fma_f64 v[50:51], v[0:1], v[176:177], -v[50:51]
	v_mul_f64 v[0:1], v[0:1], v[178:179]
	s_delay_alu instid0(VALU_DEP_1) | instskip(SKIP_1) | instid1(VALU_DEP_1)
	v_fma_f64 v[52:53], v[2:3], v[176:177], v[0:1]
	v_mul_f64 v[0:1], v[21:22], v[60:61]
	v_fma_f64 v[54:55], v[19:20], v[58:59], -v[0:1]
	v_mul_f64 v[0:1], v[19:20], v[60:61]
	s_delay_alu instid0(VALU_DEP_1) | instskip(SKIP_1) | instid1(VALU_DEP_1)
	v_fma_f64 v[60:61], v[21:22], v[58:59], v[0:1]
	v_mul_u32_u24_e32 v0, 0xf83f, v45
	v_lshrrev_b32_e32 v58, 22, v0
	s_delay_alu instid0(VALU_DEP_1) | instskip(NEXT) | instid1(VALU_DEP_1)
	v_mul_lo_u16 v0, 0x42, v58
	v_sub_nc_u16 v59, v106, v0
	s_delay_alu instid0(VALU_DEP_1) | instskip(NEXT) | instid1(VALU_DEP_1)
	v_lshlrev_b16 v0, 6, v59
	v_and_b32_e32 v0, 0xffff, v0
	s_delay_alu instid0(VALU_DEP_1) | instskip(NEXT) | instid1(VALU_DEP_1)
	v_add_co_u32 v0, s1, s2, v0
	v_add_co_ci_u32_e64 v1, null, s3, 0, s1
	s_clause 0x3
	global_load_b128 v[188:191], v[0:1], off offset:880
	global_load_b128 v[180:183], v[0:1], off offset:896
	;; [unrolled: 1-line block ×4, first 2 shown]
	v_cmp_lt_u16_e64 s1, 0x41, v202
	s_waitcnt vmcnt(3)
	v_mul_f64 v[2:3], v[25:26], v[190:191]
	s_waitcnt vmcnt(1) lgkmcnt(0)
	v_mul_f64 v[0:1], v[13:14], v[194:195]
	s_delay_alu instid0(VALU_DEP_2) | instskip(SKIP_1) | instid1(VALU_DEP_3)
	v_fma_f64 v[62:63], v[23:24], v[188:189], -v[2:3]
	v_mul_f64 v[2:3], v[23:24], v[190:191]
	v_fma_f64 v[70:71], v[11:12], v[192:193], -v[0:1]
	v_mul_f64 v[0:1], v[11:12], v[194:195]
	s_delay_alu instid0(VALU_DEP_3) | instskip(SKIP_1) | instid1(VALU_DEP_3)
	v_fma_f64 v[64:65], v[25:26], v[188:189], v[2:3]
	v_mul_f64 v[2:3], v[17:18], v[182:183]
	v_fma_f64 v[72:73], v[13:14], v[192:193], v[0:1]
	s_delay_alu instid0(VALU_DEP_2) | instskip(SKIP_2) | instid1(VALU_DEP_2)
	v_fma_f64 v[66:67], v[15:16], v[180:181], -v[2:3]
	v_mul_f64 v[2:3], v[15:16], v[182:183]
	v_add_f64 v[15:16], v[31:32], v[5:6]
	v_fma_f64 v[68:69], v[17:18], v[180:181], v[2:3]
	ds_load_b128 v[0:3], v120 offset:24640
	s_waitcnt vmcnt(0) lgkmcnt(0)
	v_mul_f64 v[11:12], v[2:3], v[186:187]
	s_delay_alu instid0(VALU_DEP_1) | instskip(SKIP_1) | instid1(VALU_DEP_1)
	v_fma_f64 v[74:75], v[0:1], v[184:185], -v[11:12]
	v_mul_f64 v[0:1], v[0:1], v[186:187]
	v_fma_f64 v[76:77], v[2:3], v[184:185], v[0:1]
	v_add_f64 v[0:1], v[27:28], -v[31:32]
	v_add_f64 v[2:3], v[37:38], -v[5:6]
	s_delay_alu instid0(VALU_DEP_1) | instskip(SKIP_2) | instid1(VALU_DEP_1)
	v_add_f64 v[19:20], v[0:1], v[2:3]
	v_add_f64 v[0:1], v[29:30], -v[33:34]
	v_add_f64 v[2:3], v[39:40], -v[35:36]
	v_add_f64 v[21:22], v[0:1], v[2:3]
	ds_load_b128 v[0:3], v120
	ds_load_b128 v[11:14], v120 offset:1760
	s_waitcnt lgkmcnt(0)
	s_waitcnt_vscnt null, 0x0
	s_barrier
	buffer_gl0_inv
	v_fma_f64 v[23:24], v[15:16], -0.5, v[0:1]
	v_add_f64 v[15:16], v[33:34], v[35:36]
	s_delay_alu instid0(VALU_DEP_1) | instskip(NEXT) | instid1(VALU_DEP_3)
	v_fma_f64 v[25:26], v[15:16], -0.5, v[2:3]
	v_fma_f64 v[15:16], v[78:79], s[14:15], v[23:24]
	v_fma_f64 v[23:24], v[78:79], s[16:17], v[23:24]
	s_delay_alu instid0(VALU_DEP_3) | instskip(NEXT) | instid1(VALU_DEP_3)
	v_fma_f64 v[17:18], v[82:83], s[16:17], v[25:26]
	v_fma_f64 v[15:16], v[80:81], s[8:9], v[15:16]
	;; [unrolled: 1-line block ×3, first 2 shown]
	s_delay_alu instid0(VALU_DEP_4) | instskip(NEXT) | instid1(VALU_DEP_4)
	v_fma_f64 v[23:24], v[80:81], s[12:13], v[23:24]
	v_fma_f64 v[17:18], v[84:85], s[12:13], v[17:18]
	s_delay_alu instid0(VALU_DEP_4) | instskip(NEXT) | instid1(VALU_DEP_4)
	v_fma_f64 v[15:16], v[19:20], s[18:19], v[15:16]
	v_fma_f64 v[25:26], v[84:85], s[8:9], v[25:26]
	s_delay_alu instid0(VALU_DEP_4) | instskip(SKIP_2) | instid1(VALU_DEP_4)
	v_fma_f64 v[19:20], v[19:20], s[18:19], v[23:24]
	v_add_f64 v[23:24], v[27:28], v[37:38]
	v_fma_f64 v[17:18], v[21:22], s[18:19], v[17:18]
	v_fma_f64 v[21:22], v[21:22], s[18:19], v[25:26]
	v_add_f64 v[25:26], v[29:30], v[39:40]
	s_delay_alu instid0(VALU_DEP_4) | instskip(SKIP_2) | instid1(VALU_DEP_4)
	v_fma_f64 v[23:24], v[23:24], -0.5, v[0:1]
	v_add_f64 v[0:1], v[0:1], v[27:28]
	v_add_f64 v[27:28], v[31:32], -v[27:28]
	v_fma_f64 v[25:26], v[25:26], -0.5, v[2:3]
	v_add_f64 v[2:3], v[2:3], v[29:30]
	s_delay_alu instid0(VALU_DEP_4) | instskip(SKIP_2) | instid1(VALU_DEP_4)
	v_add_f64 v[0:1], v[0:1], v[31:32]
	v_add_f64 v[29:30], v[33:34], -v[29:30]
	v_add_f64 v[31:32], v[35:36], -v[39:40]
	v_add_f64 v[2:3], v[2:3], v[33:34]
	s_delay_alu instid0(VALU_DEP_4)
	v_add_f64 v[0:1], v[0:1], v[5:6]
	v_add_f64 v[5:6], v[5:6], -v[37:38]
	v_fma_f64 v[33:34], v[80:81], s[16:17], v[23:24]
	v_fma_f64 v[23:24], v[80:81], s[14:15], v[23:24]
	v_add_f64 v[29:30], v[29:30], v[31:32]
	v_add_f64 v[80:81], v[48:49], -v[52:53]
	v_add_f64 v[2:3], v[2:3], v[35:36]
	v_fma_f64 v[35:36], v[84:85], s[14:15], v[25:26]
	v_add_f64 v[5:6], v[27:28], v[5:6]
	v_fma_f64 v[27:28], v[78:79], s[8:9], v[33:34]
	v_fma_f64 v[31:32], v[78:79], s[12:13], v[23:24]
	v_fma_f64 v[25:26], v[84:85], s[16:17], v[25:26]
	v_add_f64 v[0:1], v[0:1], v[37:38]
	v_add_f64 v[78:79], v[43:44], -v[60:61]
	v_add_f64 v[84:85], v[46:47], -v[50:51]
	v_add_f64 v[2:3], v[2:3], v[39:40]
	v_fma_f64 v[33:34], v[82:83], s[12:13], v[35:36]
	v_fma_f64 v[23:24], v[5:6], s[18:19], v[27:28]
	;; [unrolled: 1-line block ×3, first 2 shown]
	v_add_f64 v[5:6], v[41:42], -v[46:47]
	v_add_f64 v[31:32], v[54:55], -v[50:51]
	v_fma_f64 v[35:36], v[82:83], s[8:9], v[25:26]
	v_add_f64 v[82:83], v[41:42], -v[54:55]
	v_fma_f64 v[25:26], v[29:30], s[18:19], v[33:34]
	v_add_f64 v[33:34], v[60:61], -v[52:53]
	v_add_f64 v[5:6], v[5:6], v[31:32]
	v_add_f64 v[31:32], v[43:44], -v[48:49]
	v_fma_f64 v[29:30], v[29:30], s[18:19], v[35:36]
	s_delay_alu instid0(VALU_DEP_2) | instskip(SKIP_1) | instid1(VALU_DEP_1)
	v_add_f64 v[37:38], v[31:32], v[33:34]
	v_add_f64 v[31:32], v[46:47], v[50:51]
	v_fma_f64 v[35:36], v[31:32], -0.5, v[11:12]
	v_add_f64 v[31:32], v[48:49], v[52:53]
	s_delay_alu instid0(VALU_DEP_1) | instskip(NEXT) | instid1(VALU_DEP_3)
	v_fma_f64 v[39:40], v[31:32], -0.5, v[13:14]
	v_fma_f64 v[31:32], v[78:79], s[14:15], v[35:36]
	v_fma_f64 v[35:36], v[78:79], s[16:17], v[35:36]
	s_delay_alu instid0(VALU_DEP_3) | instskip(SKIP_1) | instid1(VALU_DEP_4)
	v_fma_f64 v[33:34], v[82:83], s[16:17], v[39:40]
	v_fma_f64 v[39:40], v[82:83], s[14:15], v[39:40]
	;; [unrolled: 1-line block ×3, first 2 shown]
	s_delay_alu instid0(VALU_DEP_4) | instskip(NEXT) | instid1(VALU_DEP_4)
	v_fma_f64 v[35:36], v[80:81], s[12:13], v[35:36]
	v_fma_f64 v[33:34], v[84:85], s[12:13], v[33:34]
	s_delay_alu instid0(VALU_DEP_4) | instskip(NEXT) | instid1(VALU_DEP_4)
	v_fma_f64 v[39:40], v[84:85], s[8:9], v[39:40]
	v_fma_f64 v[31:32], v[5:6], s[18:19], v[31:32]
	s_delay_alu instid0(VALU_DEP_4) | instskip(SKIP_4) | instid1(VALU_DEP_4)
	v_fma_f64 v[35:36], v[5:6], s[18:19], v[35:36]
	v_add_f64 v[5:6], v[41:42], v[54:55]
	v_fma_f64 v[33:34], v[37:38], s[18:19], v[33:34]
	v_fma_f64 v[37:38], v[37:38], s[18:19], v[39:40]
	v_add_f64 v[39:40], v[43:44], v[60:61]
	v_fma_f64 v[5:6], v[5:6], -0.5, v[11:12]
	v_add_f64 v[11:12], v[11:12], v[41:42]
	v_add_f64 v[41:42], v[46:47], -v[41:42]
	s_delay_alu instid0(VALU_DEP_4) | instskip(SKIP_4) | instid1(VALU_DEP_4)
	v_fma_f64 v[39:40], v[39:40], -0.5, v[13:14]
	v_add_f64 v[13:14], v[13:14], v[43:44]
	v_add_f64 v[43:44], v[48:49], -v[43:44]
	v_add_f64 v[11:12], v[11:12], v[46:47]
	v_add_f64 v[45:46], v[50:51], -v[54:55]
	;; [unrolled: 2-line block ×3, first 2 shown]
	s_delay_alu instid0(VALU_DEP_4)
	v_add_f64 v[11:12], v[11:12], v[50:51]
	v_fma_f64 v[49:50], v[80:81], s[16:17], v[5:6]
	v_fma_f64 v[5:6], v[80:81], s[14:15], v[5:6]
	v_add_f64 v[45:46], v[41:42], v[45:46]
	v_add_f64 v[80:81], v[68:69], -v[72:73]
	v_add_f64 v[13:14], v[13:14], v[52:53]
	v_fma_f64 v[51:52], v[84:85], s[14:15], v[39:40]
	v_fma_f64 v[39:40], v[84:85], s[16:17], v[39:40]
	v_add_f64 v[47:48], v[43:44], v[47:48]
	v_fma_f64 v[41:42], v[78:79], s[8:9], v[49:50]
	v_fma_f64 v[5:6], v[78:79], s[12:13], v[5:6]
	v_add_f64 v[11:12], v[11:12], v[54:55]
	v_add_f64 v[78:79], v[64:65], -v[76:77]
	v_add_f64 v[84:85], v[66:67], -v[70:71]
	v_add_f64 v[13:14], v[13:14], v[60:61]
	v_fma_f64 v[43:44], v[82:83], s[12:13], v[51:52]
	v_fma_f64 v[49:50], v[82:83], s[8:9], v[39:40]
	v_add_f64 v[82:83], v[62:63], -v[74:75]
	v_fma_f64 v[39:40], v[45:46], s[18:19], v[41:42]
	s_delay_alu instid0(VALU_DEP_4)
	v_fma_f64 v[41:42], v[47:48], s[18:19], v[43:44]
	v_fma_f64 v[43:44], v[45:46], s[18:19], v[5:6]
	;; [unrolled: 1-line block ×3, first 2 shown]
	v_add_f64 v[5:6], v[62:63], -v[66:67]
	v_add_f64 v[47:48], v[74:75], -v[70:71]
	;; [unrolled: 1-line block ×3, first 2 shown]
	s_delay_alu instid0(VALU_DEP_2) | instskip(SKIP_1) | instid1(VALU_DEP_1)
	v_add_f64 v[5:6], v[5:6], v[47:48]
	v_add_f64 v[47:48], v[64:65], -v[68:69]
	v_add_f64 v[53:54], v[47:48], v[49:50]
	v_add_f64 v[47:48], v[66:67], v[70:71]
	s_delay_alu instid0(VALU_DEP_1) | instskip(SKIP_1) | instid1(VALU_DEP_1)
	v_fma_f64 v[51:52], v[47:48], -0.5, v[7:8]
	v_add_f64 v[47:48], v[68:69], v[72:73]
	v_fma_f64 v[60:61], v[47:48], -0.5, v[9:10]
	s_delay_alu instid0(VALU_DEP_3) | instskip(SKIP_1) | instid1(VALU_DEP_3)
	v_fma_f64 v[47:48], v[78:79], s[14:15], v[51:52]
	v_fma_f64 v[51:52], v[78:79], s[16:17], v[51:52]
	;; [unrolled: 1-line block ×3, first 2 shown]
	s_delay_alu instid0(VALU_DEP_3) | instskip(SKIP_1) | instid1(VALU_DEP_4)
	v_fma_f64 v[47:48], v[80:81], s[8:9], v[47:48]
	v_fma_f64 v[60:61], v[82:83], s[14:15], v[60:61]
	;; [unrolled: 1-line block ×3, first 2 shown]
	s_delay_alu instid0(VALU_DEP_4) | instskip(NEXT) | instid1(VALU_DEP_4)
	v_fma_f64 v[49:50], v[84:85], s[12:13], v[49:50]
	v_fma_f64 v[47:48], v[5:6], s[18:19], v[47:48]
	s_delay_alu instid0(VALU_DEP_4) | instskip(NEXT) | instid1(VALU_DEP_4)
	v_fma_f64 v[60:61], v[84:85], s[8:9], v[60:61]
	v_fma_f64 v[51:52], v[5:6], s[18:19], v[51:52]
	v_add_f64 v[5:6], v[62:63], v[74:75]
	v_fma_f64 v[49:50], v[53:54], s[18:19], v[49:50]
	s_delay_alu instid0(VALU_DEP_4) | instskip(NEXT) | instid1(VALU_DEP_3)
	v_fma_f64 v[53:54], v[53:54], s[18:19], v[60:61]
	v_fma_f64 v[60:61], v[5:6], -0.5, v[7:8]
	v_add_f64 v[5:6], v[64:65], v[76:77]
	s_delay_alu instid0(VALU_DEP_1)
	v_fma_f64 v[86:87], v[5:6], -0.5, v[9:10]
	v_add_f64 v[5:6], v[7:8], v[62:63]
	v_add_f64 v[7:8], v[9:10], v[64:65]
	v_add_f64 v[9:10], v[66:67], -v[62:63]
	v_add_f64 v[62:63], v[68:69], -v[64:65]
	;; [unrolled: 1-line block ×3, first 2 shown]
	v_add_f64 v[5:6], v[5:6], v[66:67]
	v_add_f64 v[7:8], v[7:8], v[68:69]
	v_add_f64 v[66:67], v[72:73], -v[76:77]
	v_fma_f64 v[68:69], v[80:81], s[16:17], v[60:61]
	v_fma_f64 v[60:61], v[80:81], s[14:15], v[60:61]
	v_add_f64 v[9:10], v[9:10], v[64:65]
	v_add_f64 v[5:6], v[5:6], v[70:71]
	v_fma_f64 v[70:71], v[84:85], s[14:15], v[86:87]
	v_add_f64 v[7:8], v[7:8], v[72:73]
	v_fma_f64 v[72:73], v[84:85], s[16:17], v[86:87]
	;; [unrolled: 2-line block ×3, first 2 shown]
	v_fma_f64 v[64:65], v[78:79], s[12:13], v[60:61]
	v_add_f64 v[5:6], v[5:6], v[74:75]
	v_fma_f64 v[68:69], v[82:83], s[12:13], v[70:71]
	v_add_f64 v[7:8], v[7:8], v[76:77]
	v_fma_f64 v[70:71], v[82:83], s[8:9], v[72:73]
	v_fma_f64 v[60:61], v[9:10], s[18:19], v[62:63]
	;; [unrolled: 1-line block ×3, first 2 shown]
	v_cndmask_b32_e64 v9, 0, 0x14a, s1
	s_delay_alu instid0(VALU_DEP_1)
	v_add_lshl_u32 v203, v4, v9, 4
	ds_store_b128 v203, v[0:3]
	ds_store_b128 v203, v[15:18] offset:1056
	ds_store_b128 v203, v[23:26] offset:2112
	;; [unrolled: 1-line block ×4, first 2 shown]
	v_and_b32_e32 v0, 0xffff, v56
	s_delay_alu instid0(VALU_DEP_1) | instskip(NEXT) | instid1(VALU_DEP_1)
	v_mul_u32_u24_e32 v0, 0x14a, v0
	v_add_lshl_u32 v201, v0, v57, 4
	v_mad_u16 v0, 0x14a, v58, v59
	ds_store_b128 v201, v[11:14]
	ds_store_b128 v201, v[31:34] offset:1056
	ds_store_b128 v201, v[39:42] offset:2112
	;; [unrolled: 1-line block ×4, first 2 shown]
	v_and_b32_e32 v0, 0xffff, v0
	v_fma_f64 v[62:63], v[66:67], s[18:19], v[68:69]
	s_delay_alu instid0(VALU_DEP_2)
	v_lshlrev_b32_e32 v172, 4, v0
	v_fma_f64 v[66:67], v[66:67], s[18:19], v[70:71]
	v_lshlrev_b32_e32 v0, 6, v202
	ds_store_b128 v172, v[5:8]
	ds_store_b128 v172, v[47:50] offset:1056
	ds_store_b128 v172, v[60:63] offset:2112
	;; [unrolled: 1-line block ×4, first 2 shown]
	v_add_co_u32 v2, s1, s2, v0
	s_delay_alu instid0(VALU_DEP_1) | instskip(SKIP_2) | instid1(VALU_DEP_1)
	v_add_co_ci_u32_e64 v3, null, s3, 0, s1
	scratch_store_b32 off, v202, off offset:128 ; 4-byte Folded Spill
	v_add_co_u32 v0, s1, 0x1000, v2
	v_add_co_ci_u32_e64 v1, s1, 0, v3, s1
	s_waitcnt lgkmcnt(0)
	s_waitcnt_vscnt null, 0x0
	s_barrier
	buffer_gl0_inv
	global_load_b128 v[164:167], v[0:1], off offset:1008
	v_add_co_u32 v4, s1, 0x13f0, v2
	s_delay_alu instid0(VALU_DEP_1)
	v_add_co_ci_u32_e64 v5, s1, 0, v3, s1
	ds_load_b128 v[6:9], v120 offset:3520
	global_load_b128 v[160:163], v[4:5], off offset:48
	ds_load_b128 v[0:3], v120 offset:5280
	s_clause 0x1
	global_load_b128 v[208:211], v[4:5], off offset:16
	global_load_b128 v[20:23], v[4:5], off offset:32
	s_waitcnt vmcnt(3) lgkmcnt(0)
	v_mul_f64 v[10:11], v[2:3], v[166:167]
	s_delay_alu instid0(VALU_DEP_1) | instskip(SKIP_1) | instid1(VALU_DEP_1)
	v_fma_f64 v[26:27], v[0:1], v[164:165], -v[10:11]
	v_mul_f64 v[0:1], v[0:1], v[166:167]
	v_fma_f64 v[28:29], v[2:3], v[164:165], v[0:1]
	ds_load_b128 v[0:3], v120 offset:10560
	ds_load_b128 v[10:13], v120 offset:12320
	s_waitcnt vmcnt(1) lgkmcnt(1)
	v_mul_f64 v[4:5], v[2:3], v[210:211]
	s_delay_alu instid0(VALU_DEP_1) | instskip(SKIP_1) | instid1(VALU_DEP_1)
	v_fma_f64 v[4:5], v[0:1], v[208:209], -v[4:5]
	v_mul_f64 v[0:1], v[0:1], v[210:211]
	v_fma_f64 v[30:31], v[2:3], v[208:209], v[0:1]
	ds_load_b128 v[0:3], v120 offset:15840
	ds_load_b128 v[14:17], v120 offset:14080
	s_waitcnt vmcnt(0)
	scratch_store_b128 off, v[20:23], off offset:596 ; 16-byte Folded Spill
	s_waitcnt lgkmcnt(1)
	v_mul_f64 v[18:19], v[2:3], v[22:23]
	s_delay_alu instid0(VALU_DEP_1) | instskip(SKIP_1) | instid1(VALU_DEP_2)
	v_fma_f64 v[32:33], v[0:1], v[20:21], -v[18:19]
	v_mul_f64 v[0:1], v[0:1], v[22:23]
	v_add_f64 v[82:83], v[4:5], -v[32:33]
	s_delay_alu instid0(VALU_DEP_2)
	v_fma_f64 v[34:35], v[2:3], v[20:21], v[0:1]
	ds_load_b128 v[0:3], v120 offset:21120
	ds_load_b128 v[18:21], v120 offset:22880
	s_waitcnt lgkmcnt(1)
	v_mul_f64 v[22:23], v[2:3], v[162:163]
	v_add_f64 v[78:79], v[30:31], -v[34:35]
	s_delay_alu instid0(VALU_DEP_2)
	v_fma_f64 v[36:37], v[0:1], v[160:161], -v[22:23]
	v_mul_f64 v[0:1], v[0:1], v[162:163]
	ds_load_b128 v[22:25], v120 offset:8800
	v_add_f64 v[80:81], v[26:27], -v[36:37]
	v_fma_f64 v[38:39], v[2:3], v[160:161], v[0:1]
	v_lshlrev_b32_e32 v0, 6, v204
	s_delay_alu instid0(VALU_DEP_1) | instskip(NEXT) | instid1(VALU_DEP_1)
	v_add_co_u32 v2, s1, s2, v0
	v_add_co_ci_u32_e64 v3, null, s3, 0, s1
	s_delay_alu instid0(VALU_DEP_2) | instskip(NEXT) | instid1(VALU_DEP_1)
	v_add_co_u32 v0, s1, 0x1000, v2
	v_add_co_ci_u32_e64 v1, s1, 0, v3, s1
	v_add_co_u32 v40, s1, 0x13f0, v2
	s_delay_alu instid0(VALU_DEP_1)
	v_add_co_ci_u32_e64 v41, s1, 0, v3, s1
	s_clause 0x1
	global_load_b128 v[216:219], v[0:1], off offset:1008
	global_load_b128 v[204:207], v[40:41], off offset:48
	ds_load_b128 v[0:3], v120 offset:7040
	s_clause 0x1
	global_load_b128 v[224:227], v[40:41], off offset:16
	global_load_b128 v[212:215], v[40:41], off offset:32
	v_add_f64 v[76:77], v[28:29], -v[38:39]
	s_waitcnt vmcnt(3) lgkmcnt(0)
	v_mul_f64 v[42:43], v[2:3], v[218:219]
	s_delay_alu instid0(VALU_DEP_1) | instskip(SKIP_1) | instid1(VALU_DEP_1)
	v_fma_f64 v[42:43], v[0:1], v[216:217], -v[42:43]
	v_mul_f64 v[0:1], v[0:1], v[218:219]
	v_fma_f64 v[44:45], v[2:3], v[216:217], v[0:1]
	s_waitcnt vmcnt(1)
	v_mul_f64 v[0:1], v[12:13], v[226:227]
	s_delay_alu instid0(VALU_DEP_1) | instskip(SKIP_1) | instid1(VALU_DEP_1)
	v_fma_f64 v[40:41], v[10:11], v[224:225], -v[0:1]
	v_mul_f64 v[0:1], v[10:11], v[226:227]
	v_fma_f64 v[46:47], v[12:13], v[224:225], v[0:1]
	ds_load_b128 v[0:3], v120 offset:17600
	ds_load_b128 v[10:13], v120 offset:19360
	s_waitcnt vmcnt(0) lgkmcnt(1)
	v_mul_f64 v[48:49], v[2:3], v[214:215]
	s_delay_alu instid0(VALU_DEP_1) | instskip(SKIP_1) | instid1(VALU_DEP_1)
	v_fma_f64 v[48:49], v[0:1], v[212:213], -v[48:49]
	v_mul_f64 v[0:1], v[0:1], v[214:215]
	v_fma_f64 v[50:51], v[2:3], v[212:213], v[0:1]
	v_mul_f64 v[0:1], v[20:21], v[206:207]
	s_delay_alu instid0(VALU_DEP_1) | instskip(SKIP_1) | instid1(VALU_DEP_1)
	v_fma_f64 v[52:53], v[18:19], v[204:205], -v[0:1]
	v_mul_f64 v[0:1], v[18:19], v[206:207]
	v_fma_f64 v[54:55], v[20:21], v[204:205], v[0:1]
	v_lshlrev_b64 v[0:1], 6, v[106:107]
	s_delay_alu instid0(VALU_DEP_1) | instskip(NEXT) | instid1(VALU_DEP_1)
	v_add_co_u32 v2, s1, s2, v0
	v_add_co_ci_u32_e64 v3, s1, s3, v1, s1
	s_delay_alu instid0(VALU_DEP_2) | instskip(NEXT) | instid1(VALU_DEP_1)
	v_add_co_u32 v0, s1, 0x1000, v2
	v_add_co_ci_u32_e64 v1, s1, 0, v3, s1
	v_add_co_u32 v2, s1, 0x13f0, v2
	s_delay_alu instid0(VALU_DEP_1)
	v_add_co_ci_u32_e64 v3, s1, 0, v3, s1
	s_clause 0x3
	global_load_b128 v[232:235], v[0:1], off offset:1008
	global_load_b128 v[220:223], v[2:3], off offset:48
	;; [unrolled: 1-line block ×4, first 2 shown]
	v_add_co_u32 v174, s1, 0x6000, v104
	s_delay_alu instid0(VALU_DEP_1) | instskip(SKIP_2) | instid1(VALU_DEP_1)
	v_add_co_ci_u32_e64 v175, s1, 0, v105, s1
	s_waitcnt vmcnt(3)
	v_mul_f64 v[0:1], v[24:25], v[234:235]
	v_fma_f64 v[60:61], v[22:23], v[232:233], -v[0:1]
	v_mul_f64 v[0:1], v[22:23], v[234:235]
	s_delay_alu instid0(VALU_DEP_1) | instskip(SKIP_2) | instid1(VALU_DEP_1)
	v_fma_f64 v[62:63], v[24:25], v[232:233], v[0:1]
	s_waitcnt vmcnt(1)
	v_mul_f64 v[0:1], v[16:17], v[238:239]
	v_fma_f64 v[64:65], v[14:15], v[236:237], -v[0:1]
	v_mul_f64 v[0:1], v[14:15], v[238:239]
	v_add_f64 v[14:15], v[4:5], v[32:33]
	s_delay_alu instid0(VALU_DEP_2) | instskip(SKIP_2) | instid1(VALU_DEP_1)
	v_fma_f64 v[66:67], v[16:17], v[236:237], v[0:1]
	s_waitcnt vmcnt(0) lgkmcnt(0)
	v_mul_f64 v[0:1], v[12:13], v[230:231]
	v_fma_f64 v[68:69], v[10:11], v[228:229], -v[0:1]
	v_mul_f64 v[0:1], v[10:11], v[230:231]
	s_delay_alu instid0(VALU_DEP_1) | instskip(SKIP_3) | instid1(VALU_DEP_1)
	v_fma_f64 v[70:71], v[12:13], v[228:229], v[0:1]
	ds_load_b128 v[0:3], v120 offset:24640
	s_waitcnt lgkmcnt(0)
	v_mul_f64 v[10:11], v[2:3], v[222:223]
	v_fma_f64 v[72:73], v[0:1], v[220:221], -v[10:11]
	v_mul_f64 v[0:1], v[0:1], v[222:223]
	s_delay_alu instid0(VALU_DEP_1) | instskip(SKIP_2) | instid1(VALU_DEP_1)
	v_fma_f64 v[74:75], v[2:3], v[220:221], v[0:1]
	v_add_f64 v[0:1], v[26:27], -v[4:5]
	v_add_f64 v[2:3], v[36:37], -v[32:33]
	v_add_f64 v[18:19], v[0:1], v[2:3]
	v_add_f64 v[0:1], v[28:29], -v[30:31]
	v_add_f64 v[2:3], v[38:39], -v[34:35]
	s_delay_alu instid0(VALU_DEP_1)
	v_add_f64 v[20:21], v[0:1], v[2:3]
	ds_load_b128 v[0:3], v120
	ds_load_b128 v[10:13], v120 offset:1760
	s_waitcnt lgkmcnt(1)
	v_fma_f64 v[22:23], v[14:15], -0.5, v[0:1]
	v_add_f64 v[14:15], v[30:31], v[34:35]
	s_delay_alu instid0(VALU_DEP_1) | instskip(NEXT) | instid1(VALU_DEP_3)
	v_fma_f64 v[24:25], v[14:15], -0.5, v[2:3]
	v_fma_f64 v[14:15], v[76:77], s[14:15], v[22:23]
	v_fma_f64 v[22:23], v[76:77], s[16:17], v[22:23]
	s_delay_alu instid0(VALU_DEP_3) | instskip(SKIP_1) | instid1(VALU_DEP_4)
	v_fma_f64 v[16:17], v[80:81], s[16:17], v[24:25]
	v_fma_f64 v[24:25], v[80:81], s[14:15], v[24:25]
	;; [unrolled: 1-line block ×3, first 2 shown]
	s_delay_alu instid0(VALU_DEP_4) | instskip(NEXT) | instid1(VALU_DEP_4)
	v_fma_f64 v[22:23], v[78:79], s[12:13], v[22:23]
	v_fma_f64 v[16:17], v[82:83], s[12:13], v[16:17]
	s_delay_alu instid0(VALU_DEP_4) | instskip(NEXT) | instid1(VALU_DEP_4)
	v_fma_f64 v[24:25], v[82:83], s[8:9], v[24:25]
	v_fma_f64 v[14:15], v[18:19], s[18:19], v[14:15]
	s_delay_alu instid0(VALU_DEP_4) | instskip(SKIP_4) | instid1(VALU_DEP_4)
	v_fma_f64 v[18:19], v[18:19], s[18:19], v[22:23]
	v_add_f64 v[22:23], v[26:27], v[36:37]
	v_fma_f64 v[16:17], v[20:21], s[18:19], v[16:17]
	v_fma_f64 v[20:21], v[20:21], s[18:19], v[24:25]
	v_add_f64 v[24:25], v[28:29], v[38:39]
	v_fma_f64 v[22:23], v[22:23], -0.5, v[0:1]
	v_add_f64 v[0:1], v[0:1], v[26:27]
	v_add_f64 v[26:27], v[4:5], -v[26:27]
	s_delay_alu instid0(VALU_DEP_4) | instskip(SKIP_1) | instid1(VALU_DEP_4)
	v_fma_f64 v[24:25], v[24:25], -0.5, v[2:3]
	v_add_f64 v[2:3], v[2:3], v[28:29]
	v_add_f64 v[0:1], v[0:1], v[4:5]
	v_add_f64 v[4:5], v[30:31], -v[28:29]
	v_add_f64 v[28:29], v[32:33], -v[36:37]
	s_delay_alu instid0(VALU_DEP_4)
	v_add_f64 v[2:3], v[2:3], v[30:31]
	v_add_f64 v[30:31], v[34:35], -v[38:39]
	v_add_f64 v[0:1], v[0:1], v[32:33]
	v_fma_f64 v[32:33], v[78:79], s[16:17], v[22:23]
	v_fma_f64 v[22:23], v[78:79], s[14:15], v[22:23]
	v_add_f64 v[26:27], v[26:27], v[28:29]
	v_add_f64 v[78:79], v[46:47], -v[50:51]
	v_add_f64 v[2:3], v[2:3], v[34:35]
	v_fma_f64 v[34:35], v[82:83], s[14:15], v[24:25]
	v_fma_f64 v[24:25], v[82:83], s[16:17], v[24:25]
	v_add_f64 v[4:5], v[4:5], v[30:31]
	v_fma_f64 v[28:29], v[76:77], s[8:9], v[32:33]
	v_fma_f64 v[30:31], v[76:77], s[12:13], v[22:23]
	v_add_f64 v[0:1], v[0:1], v[36:37]
	v_add_f64 v[76:77], v[44:45], -v[54:55]
	v_add_f64 v[82:83], v[40:41], -v[48:49]
	v_add_f64 v[2:3], v[2:3], v[38:39]
	v_fma_f64 v[32:33], v[80:81], s[12:13], v[34:35]
	v_fma_f64 v[34:35], v[80:81], s[8:9], v[24:25]
	v_add_f64 v[80:81], v[42:43], -v[52:53]
	v_fma_f64 v[22:23], v[26:27], s[18:19], v[28:29]
	v_fma_f64 v[26:27], v[26:27], s[18:19], v[30:31]
	v_add_f64 v[30:31], v[52:53], -v[48:49]
	;; [unrolled: 3-line block ×3, first 2 shown]
	v_add_f64 v[32:33], v[54:55], -v[50:51]
	s_delay_alu instid0(VALU_DEP_2) | instskip(SKIP_1) | instid1(VALU_DEP_1)
	v_add_f64 v[4:5], v[4:5], v[30:31]
	v_add_f64 v[30:31], v[44:45], -v[46:47]
	v_add_f64 v[36:37], v[30:31], v[32:33]
	v_add_f64 v[30:31], v[40:41], v[48:49]
	s_waitcnt lgkmcnt(0)
	s_delay_alu instid0(VALU_DEP_1) | instskip(SKIP_1) | instid1(VALU_DEP_1)
	v_fma_f64 v[34:35], v[30:31], -0.5, v[10:11]
	v_add_f64 v[30:31], v[46:47], v[50:51]
	v_fma_f64 v[38:39], v[30:31], -0.5, v[12:13]
	s_delay_alu instid0(VALU_DEP_3) | instskip(SKIP_1) | instid1(VALU_DEP_3)
	v_fma_f64 v[30:31], v[76:77], s[14:15], v[34:35]
	v_fma_f64 v[34:35], v[76:77], s[16:17], v[34:35]
	;; [unrolled: 1-line block ×4, first 2 shown]
	s_delay_alu instid0(VALU_DEP_4) | instskip(NEXT) | instid1(VALU_DEP_4)
	v_fma_f64 v[30:31], v[78:79], s[8:9], v[30:31]
	v_fma_f64 v[34:35], v[78:79], s[12:13], v[34:35]
	s_delay_alu instid0(VALU_DEP_4) | instskip(NEXT) | instid1(VALU_DEP_4)
	v_fma_f64 v[32:33], v[82:83], s[12:13], v[32:33]
	v_fma_f64 v[38:39], v[82:83], s[8:9], v[38:39]
	;; [unrolled: 3-line block ×3, first 2 shown]
	v_add_f64 v[4:5], v[42:43], v[52:53]
	v_fma_f64 v[32:33], v[36:37], s[18:19], v[32:33]
	v_fma_f64 v[36:37], v[36:37], s[18:19], v[38:39]
	v_add_f64 v[38:39], v[44:45], v[54:55]
	s_delay_alu instid0(VALU_DEP_4) | instskip(SKIP_2) | instid1(VALU_DEP_4)
	v_fma_f64 v[4:5], v[4:5], -0.5, v[10:11]
	v_add_f64 v[10:11], v[10:11], v[42:43]
	v_add_f64 v[42:43], v[40:41], -v[42:43]
	v_fma_f64 v[38:39], v[38:39], -0.5, v[12:13]
	v_add_f64 v[12:13], v[12:13], v[44:45]
	s_delay_alu instid0(VALU_DEP_4) | instskip(SKIP_2) | instid1(VALU_DEP_4)
	v_add_f64 v[10:11], v[10:11], v[40:41]
	v_add_f64 v[40:41], v[46:47], -v[44:45]
	v_add_f64 v[44:45], v[48:49], -v[52:53]
	v_add_f64 v[12:13], v[12:13], v[46:47]
	v_add_f64 v[46:47], v[50:51], -v[54:55]
	v_add_f64 v[10:11], v[10:11], v[48:49]
	v_fma_f64 v[48:49], v[78:79], s[16:17], v[4:5]
	v_fma_f64 v[4:5], v[78:79], s[14:15], v[4:5]
	v_add_f64 v[42:43], v[42:43], v[44:45]
	v_add_f64 v[78:79], v[64:65], -v[68:69]
	v_add_f64 v[12:13], v[12:13], v[50:51]
	v_fma_f64 v[50:51], v[82:83], s[14:15], v[38:39]
	v_fma_f64 v[38:39], v[82:83], s[16:17], v[38:39]
	v_add_f64 v[44:45], v[40:41], v[46:47]
	v_fma_f64 v[40:41], v[76:77], s[8:9], v[48:49]
	v_fma_f64 v[4:5], v[76:77], s[12:13], v[4:5]
	v_add_f64 v[10:11], v[10:11], v[52:53]
	v_add_f64 v[52:53], v[66:67], -v[70:71]
	v_add_f64 v[12:13], v[12:13], v[54:55]
	v_fma_f64 v[46:47], v[80:81], s[12:13], v[50:51]
	v_fma_f64 v[48:49], v[80:81], s[8:9], v[38:39]
	v_add_f64 v[50:51], v[62:63], v[74:75]
	v_fma_f64 v[38:39], v[42:43], s[18:19], v[40:41]
	v_fma_f64 v[42:43], v[42:43], s[18:19], v[4:5]
	v_add_f64 v[4:5], v[64:65], -v[60:61]
	v_add_f64 v[54:55], v[62:63], -v[74:75]
	;; [unrolled: 1-line block ×3, first 2 shown]
	v_fma_f64 v[40:41], v[44:45], s[18:19], v[46:47]
	v_add_f64 v[46:47], v[68:69], -v[72:73]
	v_fma_f64 v[44:45], v[44:45], s[18:19], v[48:49]
	v_add_f64 v[48:49], v[70:71], -v[74:75]
	v_fma_f64 v[50:51], v[50:51], -0.5, v[8:9]
	s_delay_alu instid0(VALU_DEP_4) | instskip(SKIP_1) | instid1(VALU_DEP_3)
	v_add_f64 v[4:5], v[4:5], v[46:47]
	v_add_f64 v[46:47], v[66:67], -v[62:63]
	v_fma_f64 v[82:83], v[78:79], s[14:15], v[50:51]
	v_fma_f64 v[50:51], v[78:79], s[16:17], v[50:51]
	s_delay_alu instid0(VALU_DEP_3) | instskip(SKIP_1) | instid1(VALU_DEP_4)
	v_add_f64 v[46:47], v[46:47], v[48:49]
	v_add_f64 v[48:49], v[60:61], v[72:73]
	v_fma_f64 v[82:83], v[80:81], s[12:13], v[82:83]
	s_delay_alu instid0(VALU_DEP_4) | instskip(NEXT) | instid1(VALU_DEP_3)
	v_fma_f64 v[50:51], v[80:81], s[8:9], v[50:51]
	v_fma_f64 v[48:49], v[48:49], -0.5, v[6:7]
	s_delay_alu instid0(VALU_DEP_3) | instskip(NEXT) | instid1(VALU_DEP_3)
	v_fma_f64 v[246:247], v[46:47], s[18:19], v[82:83]
	v_fma_f64 v[250:251], v[46:47], s[18:19], v[50:51]
	v_add_f64 v[50:51], v[62:63], -v[66:67]
	s_delay_alu instid0(VALU_DEP_4) | instskip(SKIP_1) | instid1(VALU_DEP_2)
	v_fma_f64 v[76:77], v[52:53], s[16:17], v[48:49]
	v_fma_f64 v[48:49], v[52:53], s[14:15], v[48:49]
	;; [unrolled: 1-line block ×3, first 2 shown]
	s_delay_alu instid0(VALU_DEP_2) | instskip(NEXT) | instid1(VALU_DEP_2)
	v_fma_f64 v[48:49], v[54:55], s[12:13], v[48:49]
	v_fma_f64 v[244:245], v[4:5], s[18:19], v[76:77]
	s_delay_alu instid0(VALU_DEP_2) | instskip(SKIP_1) | instid1(VALU_DEP_1)
	v_fma_f64 v[248:249], v[4:5], s[18:19], v[48:49]
	v_add_f64 v[4:5], v[64:65], v[68:69]
	v_fma_f64 v[46:47], v[4:5], -0.5, v[6:7]
	v_add_f64 v[4:5], v[66:67], v[70:71]
	s_delay_alu instid0(VALU_DEP_1)
	v_fma_f64 v[48:49], v[4:5], -0.5, v[8:9]
	v_add_f64 v[4:5], v[6:7], v[60:61]
	v_add_f64 v[6:7], v[8:9], v[62:63]
	v_add_f64 v[8:9], v[60:61], -v[64:65]
	v_add_f64 v[60:61], v[72:73], -v[68:69]
	;; [unrolled: 1-line block ×3, first 2 shown]
	v_add_f64 v[4:5], v[4:5], v[64:65]
	v_fma_f64 v[64:65], v[54:55], s[14:15], v[46:47]
	v_fma_f64 v[46:47], v[54:55], s[16:17], v[46:47]
	;; [unrolled: 1-line block ×3, first 2 shown]
	v_add_f64 v[6:7], v[6:7], v[66:67]
	v_fma_f64 v[48:49], v[80:81], s[14:15], v[48:49]
	v_add_f64 v[8:9], v[8:9], v[60:61]
	v_add_f64 v[50:51], v[50:51], v[62:63]
	;; [unrolled: 1-line block ×3, first 2 shown]
	v_fma_f64 v[60:61], v[52:53], s[8:9], v[64:65]
	v_fma_f64 v[46:47], v[52:53], s[12:13], v[46:47]
	;; [unrolled: 1-line block ×3, first 2 shown]
	v_add_f64 v[6:7], v[6:7], v[70:71]
	v_fma_f64 v[48:49], v[78:79], s[8:9], v[48:49]
	v_add_f64 v[4:5], v[4:5], v[72:73]
	v_fma_f64 v[240:241], v[8:9], s[18:19], v[60:61]
	v_fma_f64 v[252:253], v[8:9], s[18:19], v[46:47]
	;; [unrolled: 1-line block ×3, first 2 shown]
	v_add_f64 v[6:7], v[6:7], v[74:75]
	v_fma_f64 v[254:255], v[50:51], s[18:19], v[48:49]
	ds_store_b128 v120, v[0:3]
	ds_store_b128 v120, v[10:13] offset:1760
	ds_store_b128 v120, v[4:7] offset:3520
	ds_store_b128 v120, v[14:17] offset:5280
	ds_store_b128 v120, v[26:29] offset:15840
	ds_store_b128 v120, v[30:33] offset:7040
	ds_store_b128 v120, v[22:25] offset:10560
	ds_store_b128 v120, v[38:41] offset:12320
	ds_store_b128 v120, v[42:45] offset:17600
	ds_store_b128 v120, v[18:21] offset:21120
	ds_store_b128 v120, v[34:37] offset:22880
	ds_store_b128 v120, v[240:243] offset:8800
	ds_store_b128 v120, v[244:247] offset:14080
	ds_store_b128 v120, v[248:251] offset:19360
	ds_store_b128 v120, v[252:255] offset:24640
	s_waitcnt lgkmcnt(0)
	s_waitcnt_vscnt null, 0x0
	s_barrier
	buffer_gl0_inv
	global_load_b128 v[0:3], v[174:175], off offset:1824
	ds_load_b128 v[4:7], v120
	ds_load_b128 v[8:11], v120 offset:2400
	s_waitcnt vmcnt(0) lgkmcnt(1)
	v_mul_f64 v[12:13], v[6:7], v[2:3]
	v_mul_f64 v[14:15], v[4:5], v[2:3]
	s_delay_alu instid0(VALU_DEP_2) | instskip(NEXT) | instid1(VALU_DEP_2)
	v_fma_f64 v[2:3], v[4:5], v[0:1], -v[12:13]
	v_fma_f64 v[4:5], v[6:7], v[0:1], v[14:15]
	v_add_co_u32 v6, s1, 0x7000, v104
	s_delay_alu instid0(VALU_DEP_1) | instskip(SKIP_1) | instid1(VALU_DEP_1)
	v_add_co_ci_u32_e64 v7, s1, 0, v105, s1
	v_add_co_u32 v0, s1, 0x6720, v104
	v_add_co_ci_u32_e64 v1, s1, 0, v105, s1
	s_clause 0x1
	global_load_b128 v[12:15], v[6:7], off offset:2528
	global_load_b128 v[16:19], v[0:1], off offset:2400
	s_waitcnt vmcnt(0) lgkmcnt(0)
	v_mul_f64 v[6:7], v[10:11], v[18:19]
	v_mul_f64 v[18:19], v[8:9], v[18:19]
	s_delay_alu instid0(VALU_DEP_2) | instskip(NEXT) | instid1(VALU_DEP_2)
	v_fma_f64 v[6:7], v[8:9], v[16:17], -v[6:7]
	v_fma_f64 v[8:9], v[10:11], v[16:17], v[18:19]
	ds_load_b128 v[16:19], v120 offset:4800
	ds_load_b128 v[20:23], v120 offset:7200
	s_waitcnt lgkmcnt(1)
	v_mul_f64 v[10:11], v[18:19], v[14:15]
	v_mul_f64 v[14:15], v[16:17], v[14:15]
	s_delay_alu instid0(VALU_DEP_2) | instskip(NEXT) | instid1(VALU_DEP_2)
	v_fma_f64 v[10:11], v[16:17], v[12:13], -v[10:11]
	v_fma_f64 v[12:13], v[18:19], v[12:13], v[14:15]
	v_add_co_u32 v18, s1, 0x8000, v104
	s_delay_alu instid0(VALU_DEP_1)
	v_add_co_ci_u32_e64 v19, s1, 0, v105, s1
	s_clause 0x1
	global_load_b128 v[14:17], v[18:19], off offset:832
	global_load_b128 v[24:27], v[18:19], off offset:3232
	s_waitcnt vmcnt(1) lgkmcnt(0)
	v_mul_f64 v[18:19], v[22:23], v[16:17]
	v_mul_f64 v[28:29], v[20:21], v[16:17]
	s_delay_alu instid0(VALU_DEP_2) | instskip(NEXT) | instid1(VALU_DEP_2)
	v_fma_f64 v[16:17], v[20:21], v[14:15], -v[18:19]
	v_fma_f64 v[18:19], v[22:23], v[14:15], v[28:29]
	ds_load_b128 v[20:23], v120 offset:9600
	ds_load_b128 v[28:31], v120 offset:12000
	s_waitcnt vmcnt(0) lgkmcnt(1)
	v_mul_f64 v[14:15], v[22:23], v[26:27]
	v_mul_f64 v[26:27], v[20:21], v[26:27]
	s_delay_alu instid0(VALU_DEP_2) | instskip(SKIP_1) | instid1(VALU_DEP_1)
	v_fma_f64 v[20:21], v[20:21], v[24:25], -v[14:15]
	v_add_co_u32 v14, s1, 0x9000, v104
	v_add_co_ci_u32_e64 v15, s1, 0, v105, s1
	s_delay_alu instid0(VALU_DEP_4)
	v_fma_f64 v[22:23], v[22:23], v[24:25], v[26:27]
	s_clause 0x1
	global_load_b128 v[24:27], v[14:15], off offset:1536
	global_load_b128 v[32:35], v[14:15], off offset:3936
	s_waitcnt vmcnt(1) lgkmcnt(0)
	v_mul_f64 v[14:15], v[30:31], v[26:27]
	v_mul_f64 v[36:37], v[28:29], v[26:27]
	s_delay_alu instid0(VALU_DEP_2) | instskip(NEXT) | instid1(VALU_DEP_2)
	v_fma_f64 v[26:27], v[28:29], v[24:25], -v[14:15]
	v_fma_f64 v[28:29], v[30:31], v[24:25], v[36:37]
	ds_load_b128 v[36:39], v120 offset:14400
	ds_load_b128 v[40:43], v120 offset:16800
	s_waitcnt vmcnt(0) lgkmcnt(1)
	v_mul_f64 v[14:15], v[38:39], v[34:35]
	v_mul_f64 v[24:25], v[36:37], v[34:35]
	s_delay_alu instid0(VALU_DEP_2) | instskip(SKIP_1) | instid1(VALU_DEP_1)
	v_fma_f64 v[30:31], v[36:37], v[32:33], -v[14:15]
	v_add_co_u32 v14, s1, 0xa000, v104
	v_add_co_ci_u32_e64 v15, s1, 0, v105, s1
	s_delay_alu instid0(VALU_DEP_4) | instskip(SKIP_1) | instid1(VALU_DEP_1)
	v_fma_f64 v[32:33], v[38:39], v[32:33], v[24:25]
	v_add_co_u32 v24, s1, 0xb000, v104
	v_add_co_ci_u32_e64 v25, s1, 0, v105, s1
	s_clause 0x1
	global_load_b128 v[34:37], v[14:15], off offset:2240
	global_load_b128 v[44:47], v[24:25], off offset:544
	s_waitcnt vmcnt(1) lgkmcnt(0)
	v_mul_f64 v[14:15], v[42:43], v[36:37]
	v_mul_f64 v[38:39], v[40:41], v[36:37]
	s_delay_alu instid0(VALU_DEP_2) | instskip(NEXT) | instid1(VALU_DEP_2)
	v_fma_f64 v[36:37], v[40:41], v[34:35], -v[14:15]
	v_fma_f64 v[38:39], v[42:43], v[34:35], v[38:39]
	ds_load_b128 v[40:43], v120 offset:19200
	ds_load_b128 v[48:51], v120 offset:21600
	s_waitcnt vmcnt(0) lgkmcnt(1)
	v_mul_f64 v[14:15], v[42:43], v[46:47]
	v_mul_f64 v[34:35], v[40:41], v[46:47]
	s_delay_alu instid0(VALU_DEP_2) | instskip(SKIP_1) | instid1(VALU_DEP_1)
	v_fma_f64 v[40:41], v[40:41], v[44:45], -v[14:15]
	v_add_co_u32 v14, s1, 0xc000, v104
	v_add_co_ci_u32_e64 v15, s1, 0, v105, s1
	s_delay_alu instid0(VALU_DEP_4)
	v_fma_f64 v[42:43], v[42:43], v[44:45], v[34:35]
	s_clause 0x1
	global_load_b128 v[44:47], v[24:25], off offset:2944
	global_load_b128 v[52:55], v[14:15], off offset:1248
	ds_load_b128 v[60:63], v120 offset:24000
	s_waitcnt vmcnt(1) lgkmcnt(1)
	v_mul_f64 v[14:15], v[50:51], v[46:47]
	v_mul_f64 v[24:25], v[48:49], v[46:47]
	s_delay_alu instid0(VALU_DEP_2) | instskip(NEXT) | instid1(VALU_DEP_2)
	v_fma_f64 v[46:47], v[48:49], v[44:45], -v[14:15]
	v_fma_f64 v[48:49], v[50:51], v[44:45], v[24:25]
	s_waitcnt vmcnt(0) lgkmcnt(0)
	v_mul_f64 v[14:15], v[62:63], v[54:55]
	v_mul_f64 v[24:25], v[60:61], v[54:55]
	s_delay_alu instid0(VALU_DEP_2) | instskip(NEXT) | instid1(VALU_DEP_2)
	v_fma_f64 v[50:51], v[60:61], v[52:53], -v[14:15]
	v_fma_f64 v[52:53], v[62:63], v[52:53], v[24:25]
	ds_store_b128 v120, v[2:5]
	ds_store_b128 v120, v[6:9] offset:2400
	ds_store_b128 v120, v[10:13] offset:4800
	;; [unrolled: 1-line block ×10, first 2 shown]
	s_and_saveexec_b32 s2, vcc_lo
	s_cbranch_execz .LBB0_13
; %bb.12:
	global_load_b128 v[2:5], v[0:1], off offset:1760
	v_add_co_u32 v10, s1, 0x1000, v0
	s_delay_alu instid0(VALU_DEP_1)
	v_add_co_ci_u32_e64 v11, s1, 0, v1, s1
	v_add_co_u32 v18, s1, 0x2000, v0
	s_clause 0x1
	global_load_b128 v[6:9], v[10:11], off offset:64
	global_load_b128 v[10:13], v[10:11], off offset:2464
	v_add_co_ci_u32_e64 v19, s1, 0, v1, s1
	s_clause 0x1
	global_load_b128 v[14:17], v[18:19], off offset:768
	global_load_b128 v[18:21], v[18:19], off offset:3168
	v_add_co_u32 v26, s1, 0x3000, v0
	s_delay_alu instid0(VALU_DEP_1) | instskip(SKIP_4) | instid1(VALU_DEP_1)
	v_add_co_ci_u32_e64 v27, s1, 0, v1, s1
	s_clause 0x1
	global_load_b128 v[22:25], v[26:27], off offset:1472
	global_load_b128 v[26:29], v[26:27], off offset:3872
	v_add_co_u32 v30, s1, 0x4000, v0
	v_add_co_ci_u32_e64 v31, s1, 0, v1, s1
	v_add_co_u32 v38, s1, 0x5000, v0
	s_delay_alu instid0(VALU_DEP_1)
	v_add_co_ci_u32_e64 v39, s1, 0, v1, s1
	global_load_b128 v[30:33], v[30:31], off offset:2176
	v_add_co_u32 v0, s1, 0x6000, v0
	global_load_b128 v[34:37], v[38:39], off offset:480
	v_add_co_ci_u32_e64 v1, s1, 0, v1, s1
	s_clause 0x1
	global_load_b128 v[38:41], v[38:39], off offset:2880
	global_load_b128 v[42:45], v[0:1], off offset:1184
	ds_load_b128 v[46:49], v120 offset:1760
	ds_load_b128 v[50:53], v120 offset:4160
	;; [unrolled: 1-line block ×3, first 2 shown]
	s_waitcnt vmcnt(10) lgkmcnt(2)
	v_mul_f64 v[0:1], v[48:49], v[4:5]
	v_mul_f64 v[4:5], v[46:47], v[4:5]
	s_waitcnt vmcnt(9) lgkmcnt(1)
	v_mul_f64 v[54:55], v[52:53], v[8:9]
	v_mul_f64 v[8:9], v[50:51], v[8:9]
	s_delay_alu instid0(VALU_DEP_4) | instskip(NEXT) | instid1(VALU_DEP_4)
	v_fma_f64 v[0:1], v[46:47], v[2:3], -v[0:1]
	v_fma_f64 v[2:3], v[48:49], v[2:3], v[4:5]
	ds_load_b128 v[46:49], v120 offset:8960
	s_waitcnt vmcnt(8) lgkmcnt(1)
	v_mul_f64 v[64:65], v[62:63], v[12:13]
	v_mul_f64 v[12:13], v[60:61], v[12:13]
	v_fma_f64 v[4:5], v[50:51], v[6:7], -v[54:55]
	v_fma_f64 v[6:7], v[52:53], v[6:7], v[8:9]
	ds_load_b128 v[50:53], v120 offset:11360
	s_waitcnt vmcnt(7) lgkmcnt(1)
	v_mul_f64 v[54:55], v[48:49], v[16:17]
	v_mul_f64 v[16:17], v[46:47], v[16:17]
	;; [unrolled: 6-line block ×8, first 2 shown]
	v_fma_f64 v[32:33], v[60:61], v[34:35], -v[64:65]
	s_waitcnt vmcnt(0) lgkmcnt(0)
	v_mul_f64 v[60:61], v[52:53], v[44:45]
	v_mul_f64 v[44:45], v[50:51], v[44:45]
	v_fma_f64 v[34:35], v[62:63], v[34:35], v[36:37]
	v_fma_f64 v[36:37], v[46:47], v[38:39], -v[54:55]
	v_fma_f64 v[38:39], v[48:49], v[38:39], v[40:41]
	v_fma_f64 v[40:41], v[50:51], v[42:43], -v[60:61]
	v_fma_f64 v[42:43], v[52:53], v[42:43], v[44:45]
	ds_store_b128 v120, v[0:3] offset:1760
	ds_store_b128 v120, v[4:7] offset:4160
	;; [unrolled: 1-line block ×11, first 2 shown]
.LBB0_13:
	s_or_b32 exec_lo, exec_lo, s2
	s_waitcnt lgkmcnt(0)
	s_barrier
	buffer_gl0_inv
	ds_load_b128 v[0:3], v120
	ds_load_b128 v[8:11], v120 offset:2400
	ds_load_b128 v[12:15], v120 offset:4800
	;; [unrolled: 1-line block ×10, first 2 shown]
	s_and_saveexec_b32 s1, vcc_lo
	s_cbranch_execz .LBB0_15
; %bb.14:
	ds_load_b128 v[240:243], v120 offset:1760
	ds_load_b128 v[244:247], v120 offset:4160
	;; [unrolled: 1-line block ×7, first 2 shown]
	s_waitcnt lgkmcnt(0)
	scratch_store_b128 off, v[44:47], off offset:64 ; 16-byte Folded Spill
	ds_load_b128 v[44:47], v120 offset:18560
	s_waitcnt lgkmcnt(0)
	scratch_store_b128 off, v[44:47], off offset:48 ; 16-byte Folded Spill
	ds_load_b128 v[44:47], v120 offset:20960
	;; [unrolled: 3-line block ×4, first 2 shown]
	s_waitcnt lgkmcnt(0)
	scratch_store_b128 off, v[44:47], off   ; 16-byte Folded Spill
.LBB0_15:
	s_or_b32 exec_lo, exec_lo, s1
	s_waitcnt lgkmcnt(9)
	v_add_f64 v[44:45], v[0:1], v[8:9]
	v_add_f64 v[46:47], v[2:3], v[10:11]
	s_waitcnt lgkmcnt(4)
	v_add_f64 v[48:49], v[42:43], v[38:39]
	v_add_f64 v[50:51], v[40:41], v[36:37]
	s_waitcnt lgkmcnt(3)
	v_add_f64 v[52:53], v[28:29], -v[32:33]
	s_waitcnt lgkmcnt(2)
	v_add_f64 v[54:55], v[20:21], v[24:25]
	v_add_f64 v[60:61], v[20:21], -v[24:25]
	s_waitcnt lgkmcnt(1)
	v_add_f64 v[62:63], v[12:13], v[16:17]
	v_add_f64 v[64:65], v[12:13], -v[16:17]
	s_mov_b32 s36, 0xf8bb580b
	s_mov_b32 s22, 0x8eee2c13
	s_mov_b32 s20, 0x43842ef
	s_mov_b32 s14, 0xbb3a28a1
	s_mov_b32 s2, 0xfd768dbf
	s_mov_b32 s37, 0xbfe14ced
	s_mov_b32 s23, 0xbfed1bb4
	s_mov_b32 s21, 0xbfefac9e
	s_mov_b32 s15, 0xbfe82f19
	s_mov_b32 s3, 0xbfd207e7
	s_mov_b32 s8, 0x8764f0ba
	s_mov_b32 s24, 0xd9c712b6
	s_mov_b32 s18, 0x640f44db
	s_mov_b32 s16, 0x7f775887
	s_mov_b32 s12, 0x9bcd5057
	s_mov_b32 s9, 0x3feaeb8c
	s_mov_b32 s25, 0x3fda9628
	s_mov_b32 s19, 0xbfc2375f
	s_mov_b32 s17, 0xbfe4f49e
	s_mov_b32 s13, 0xbfeeb42a
	s_mov_b32 s27, 0x3fe14ced
	s_mov_b32 s35, 0x3fed1bb4
	s_mov_b32 s29, 0x3fefac9e
	s_mov_b32 s39, 0x3fe82f19
	s_mov_b32 s31, 0x3fd207e7
	s_mov_b32 s26, s36
	s_mov_b32 s34, s22
	s_mov_b32 s28, s20
	s_mov_b32 s38, s14
	v_add_f64 v[44:45], v[44:45], v[12:13]
	v_add_f64 v[46:47], v[46:47], v[14:15]
	s_mov_b32 s30, s2
	v_mul_f64 v[100:101], v[48:49], s[12:13]
	s_waitcnt lgkmcnt(0)
	s_waitcnt_vscnt null, 0x0
	s_barrier
	buffer_gl0_inv
	v_add_f64 v[44:45], v[44:45], v[20:21]
	v_add_f64 v[46:47], v[46:47], v[22:23]
	s_delay_alu instid0(VALU_DEP_2) | instskip(NEXT) | instid1(VALU_DEP_2)
	v_add_f64 v[44:45], v[44:45], v[28:29]
	v_add_f64 v[46:47], v[46:47], v[30:31]
	s_delay_alu instid0(VALU_DEP_2) | instskip(NEXT) | instid1(VALU_DEP_2)
	v_add_f64 v[44:45], v[44:45], v[40:41]
	v_add_f64 v[46:47], v[46:47], v[42:43]
	v_add_f64 v[42:43], v[42:43], -v[38:39]
	v_add_f64 v[40:41], v[40:41], -v[36:37]
	s_delay_alu instid0(VALU_DEP_4) | instskip(NEXT) | instid1(VALU_DEP_4)
	v_add_f64 v[36:37], v[44:45], v[36:37]
	v_add_f64 v[38:39], v[46:47], v[38:39]
	;; [unrolled: 1-line block ×4, first 2 shown]
	v_add_f64 v[28:29], v[30:31], -v[34:35]
	v_mul_f64 v[98:99], v[42:43], s[2:3]
	v_add_f64 v[30:31], v[36:37], v[32:33]
	v_add_f64 v[32:33], v[38:39], v[34:35]
	v_add_f64 v[34:35], v[22:23], v[26:27]
	v_add_f64 v[36:37], v[22:23], -v[26:27]
	v_mul_f64 v[94:95], v[28:29], s[14:15]
	v_mul_f64 v[96:97], v[46:47], s[16:17]
	v_add_f64 v[20:21], v[30:31], v[24:25]
	v_add_f64 v[22:23], v[32:33], v[26:27]
	v_add_f64 v[30:31], v[14:15], -v[18:19]
	v_add_f64 v[32:33], v[14:15], v[18:19]
	v_mul_f64 v[121:122], v[36:37], s[20:21]
	v_mul_f64 v[92:93], v[34:35], s[18:19]
	v_add_f64 v[12:13], v[20:21], v[16:17]
	v_add_f64 v[14:15], v[22:23], v[18:19]
	v_add_f64 v[16:17], v[10:11], -v[6:7]
	v_add_f64 v[18:19], v[8:9], v[4:5]
	v_add_f64 v[10:11], v[10:11], v[6:7]
	v_add_f64 v[8:9], v[8:9], -v[4:5]
	v_mul_f64 v[106:107], v[30:31], s[22:23]
	v_mul_f64 v[90:91], v[32:33], s[24:25]
	v_add_f64 v[4:5], v[12:13], v[4:5]
	v_add_f64 v[6:7], v[14:15], v[6:7]
	v_mul_f64 v[12:13], v[16:17], s[36:37]
	v_mul_f64 v[14:15], v[16:17], s[22:23]
	;; [unrolled: 1-line block ×8, first 2 shown]
	v_fma_f64 v[24:25], v[18:19], s[8:9], v[12:13]
	v_fma_f64 v[12:13], v[18:19], s[8:9], -v[12:13]
	v_fma_f64 v[26:27], v[18:19], s[24:25], v[14:15]
	v_fma_f64 v[14:15], v[18:19], s[24:25], -v[14:15]
	;; [unrolled: 2-line block ×5, first 2 shown]
	v_mul_f64 v[18:19], v[10:11], s[8:9]
	v_mul_f64 v[10:11], v[10:11], s[12:13]
	v_fma_f64 v[78:79], v[8:9], s[34:35], v[70:71]
	v_fma_f64 v[70:71], v[8:9], s[22:23], v[70:71]
	;; [unrolled: 1-line block ×6, first 2 shown]
	v_add_f64 v[14:15], v[0:1], v[14:15]
	v_add_f64 v[38:39], v[0:1], v[38:39]
	;; [unrolled: 1-line block ×5, first 2 shown]
	v_fma_f64 v[76:77], v[8:9], s[26:27], v[18:19]
	v_fma_f64 v[18:19], v[8:9], s[36:37], v[18:19]
	;; [unrolled: 1-line block ×4, first 2 shown]
	v_add_f64 v[10:11], v[0:1], v[24:25]
	v_add_f64 v[72:73], v[2:3], v[72:73]
	;; [unrolled: 1-line block ×14, first 2 shown]
	v_fma_f64 v[0:1], v[62:63], s[24:25], v[106:107]
	v_add_f64 v[88:89], v[2:3], v[8:9]
	v_fma_f64 v[2:3], v[64:65], s[34:35], v[90:91]
	v_fma_f64 v[8:9], v[54:55], s[18:19], v[121:122]
	v_mul_f64 v[16:17], v[30:31], s[14:15]
	v_add_f64 v[0:1], v[0:1], v[10:11]
	s_delay_alu instid0(VALU_DEP_4) | instskip(NEXT) | instid1(VALU_DEP_2)
	v_add_f64 v[2:3], v[2:3], v[24:25]
	v_add_f64 v[0:1], v[8:9], v[0:1]
	v_fma_f64 v[8:9], v[60:61], s[28:29], v[92:93]
	s_delay_alu instid0(VALU_DEP_1) | instskip(SKIP_1) | instid1(VALU_DEP_1)
	v_add_f64 v[2:3], v[8:9], v[2:3]
	v_fma_f64 v[8:9], v[44:45], s[16:17], v[94:95]
	v_add_f64 v[0:1], v[8:9], v[0:1]
	v_fma_f64 v[8:9], v[52:53], s[38:39], v[96:97]
	s_delay_alu instid0(VALU_DEP_1) | instskip(SKIP_1) | instid1(VALU_DEP_1)
	v_add_f64 v[2:3], v[8:9], v[2:3]
	v_fma_f64 v[8:9], v[50:51], s[12:13], v[98:99]
	v_add_f64 v[0:1], v[8:9], v[0:1]
	v_fma_f64 v[8:9], v[40:41], s[30:31], v[100:101]
	s_delay_alu instid0(VALU_DEP_1) | instskip(SKIP_2) | instid1(VALU_DEP_2)
	v_add_f64 v[2:3], v[8:9], v[2:3]
	v_fma_f64 v[8:9], v[62:63], s[16:17], v[16:17]
	v_fma_f64 v[16:17], v[62:63], s[16:17], -v[16:17]
	v_add_f64 v[8:9], v[8:9], v[12:13]
	v_mul_f64 v[12:13], v[32:33], s[16:17]
	s_delay_alu instid0(VALU_DEP_3) | instskip(NEXT) | instid1(VALU_DEP_2)
	v_add_f64 v[14:15], v[16:17], v[14:15]
	v_fma_f64 v[10:11], v[64:65], s[38:39], v[12:13]
	v_fma_f64 v[12:13], v[64:65], s[14:15], v[12:13]
	s_delay_alu instid0(VALU_DEP_2) | instskip(SKIP_1) | instid1(VALU_DEP_3)
	v_add_f64 v[10:11], v[10:11], v[18:19]
	v_mul_f64 v[18:19], v[36:37], s[30:31]
	v_add_f64 v[12:13], v[12:13], v[26:27]
	v_mul_f64 v[26:27], v[36:37], s[34:35]
	s_delay_alu instid0(VALU_DEP_3) | instskip(SKIP_1) | instid1(VALU_DEP_2)
	v_fma_f64 v[22:23], v[54:55], s[12:13], v[18:19]
	v_fma_f64 v[16:17], v[54:55], s[12:13], -v[18:19]
	v_add_f64 v[8:9], v[22:23], v[8:9]
	v_mul_f64 v[22:23], v[34:35], s[12:13]
	s_delay_alu instid0(VALU_DEP_3) | instskip(NEXT) | instid1(VALU_DEP_2)
	v_add_f64 v[14:15], v[16:17], v[14:15]
	v_fma_f64 v[24:25], v[60:61], s[2:3], v[22:23]
	v_fma_f64 v[16:17], v[60:61], s[30:31], v[22:23]
	v_mul_f64 v[22:23], v[30:31], s[30:31]
	s_delay_alu instid0(VALU_DEP_3) | instskip(SKIP_1) | instid1(VALU_DEP_4)
	v_add_f64 v[10:11], v[24:25], v[10:11]
	v_mul_f64 v[24:25], v[28:29], s[28:29]
	v_add_f64 v[12:13], v[16:17], v[12:13]
	s_delay_alu instid0(VALU_DEP_2) | instskip(SKIP_2) | instid1(VALU_DEP_3)
	v_fma_f64 v[102:103], v[44:45], s[18:19], v[24:25]
	v_fma_f64 v[16:17], v[44:45], s[18:19], -v[24:25]
	v_mul_f64 v[24:25], v[32:33], s[12:13]
	v_add_f64 v[8:9], v[102:103], v[8:9]
	v_mul_f64 v[102:103], v[46:47], s[18:19]
	s_delay_alu instid0(VALU_DEP_4) | instskip(NEXT) | instid1(VALU_DEP_2)
	v_add_f64 v[14:15], v[16:17], v[14:15]
	v_fma_f64 v[56:57], v[52:53], s[20:21], v[102:103]
	v_fma_f64 v[16:17], v[52:53], s[28:29], v[102:103]
	s_delay_alu instid0(VALU_DEP_2) | instskip(SKIP_1) | instid1(VALU_DEP_3)
	v_add_f64 v[10:11], v[56:57], v[10:11]
	v_mul_f64 v[56:57], v[42:43], s[26:27]
	v_add_f64 v[12:13], v[16:17], v[12:13]
	s_delay_alu instid0(VALU_DEP_2) | instskip(SKIP_1) | instid1(VALU_DEP_2)
	v_fma_f64 v[58:59], v[50:51], s[8:9], v[56:57]
	v_fma_f64 v[16:17], v[50:51], s[8:9], -v[56:57]
	v_add_f64 v[8:9], v[58:59], v[8:9]
	v_mul_f64 v[58:59], v[48:49], s[8:9]
	s_delay_alu instid0(VALU_DEP_3) | instskip(SKIP_1) | instid1(VALU_DEP_3)
	v_add_f64 v[16:17], v[16:17], v[14:15]
	v_fma_f64 v[14:15], v[64:65], s[2:3], v[24:25]
	v_fma_f64 v[18:19], v[40:41], s[26:27], v[58:59]
	;; [unrolled: 1-line block ×3, first 2 shown]
	s_delay_alu instid0(VALU_DEP_3) | instskip(NEXT) | instid1(VALU_DEP_3)
	v_add_f64 v[14:15], v[14:15], v[70:71]
	v_add_f64 v[18:19], v[18:19], v[12:13]
	v_fma_f64 v[12:13], v[62:63], s[12:13], v[22:23]
	v_fma_f64 v[22:23], v[62:63], s[12:13], -v[22:23]
	v_add_f64 v[10:11], v[108:109], v[10:11]
	s_delay_alu instid0(VALU_DEP_3) | instskip(SKIP_1) | instid1(VALU_DEP_4)
	v_add_f64 v[12:13], v[12:13], v[38:39]
	v_fma_f64 v[38:39], v[54:55], s[24:25], v[26:27]
	v_add_f64 v[20:21], v[22:23], v[20:21]
	v_fma_f64 v[22:23], v[64:65], s[30:31], v[24:25]
	v_fma_f64 v[24:25], v[54:55], s[24:25], -v[26:27]
	s_delay_alu instid0(VALU_DEP_4) | instskip(SKIP_1) | instid1(VALU_DEP_4)
	v_add_f64 v[12:13], v[38:39], v[12:13]
	v_mul_f64 v[38:39], v[34:35], s[24:25]
	v_add_f64 v[22:23], v[22:23], v[72:73]
	s_delay_alu instid0(VALU_DEP_4) | instskip(NEXT) | instid1(VALU_DEP_3)
	v_add_f64 v[20:21], v[24:25], v[20:21]
	v_fma_f64 v[56:57], v[60:61], s[22:23], v[38:39]
	v_fma_f64 v[24:25], v[60:61], s[34:35], v[38:39]
	v_mul_f64 v[38:39], v[30:31], s[28:29]
	s_delay_alu instid0(VALU_DEP_3) | instskip(SKIP_1) | instid1(VALU_DEP_4)
	v_add_f64 v[14:15], v[56:57], v[14:15]
	v_mul_f64 v[56:57], v[28:29], s[36:37]
	v_add_f64 v[22:23], v[24:25], v[22:23]
	s_delay_alu instid0(VALU_DEP_2) | instskip(SKIP_3) | instid1(VALU_DEP_4)
	v_fma_f64 v[58:59], v[44:45], s[8:9], v[56:57]
	v_fma_f64 v[24:25], v[44:45], s[8:9], -v[56:57]
	v_mul_f64 v[56:57], v[32:33], s[18:19]
	v_mul_f64 v[32:33], v[32:33], s[8:9]
	v_add_f64 v[12:13], v[58:59], v[12:13]
	v_mul_f64 v[58:59], v[46:47], s[8:9]
	v_add_f64 v[20:21], v[24:25], v[20:21]
	s_delay_alu instid0(VALU_DEP_2) | instskip(SKIP_3) | instid1(VALU_DEP_4)
	v_fma_f64 v[70:71], v[52:53], s[26:27], v[58:59]
	v_fma_f64 v[24:25], v[52:53], s[36:37], v[58:59]
	v_mul_f64 v[58:59], v[36:37], s[36:37]
	v_mul_f64 v[36:37], v[36:37], s[14:15]
	v_add_f64 v[14:15], v[70:71], v[14:15]
	v_mul_f64 v[70:71], v[42:43], s[14:15]
	v_add_f64 v[22:23], v[24:25], v[22:23]
	s_delay_alu instid0(VALU_DEP_2) | instskip(SKIP_1) | instid1(VALU_DEP_2)
	v_fma_f64 v[102:103], v[50:51], s[16:17], v[70:71]
	v_fma_f64 v[24:25], v[50:51], s[16:17], -v[70:71]
	v_add_f64 v[12:13], v[102:103], v[12:13]
	v_mul_f64 v[102:103], v[48:49], s[16:17]
	s_delay_alu instid0(VALU_DEP_3) | instskip(SKIP_1) | instid1(VALU_DEP_3)
	v_add_f64 v[20:21], v[24:25], v[20:21]
	v_fma_f64 v[24:25], v[62:63], s[18:19], v[38:39]
	v_fma_f64 v[26:27], v[40:41], s[14:15], v[102:103]
	;; [unrolled: 1-line block ×3, first 2 shown]
	s_delay_alu instid0(VALU_DEP_3) | instskip(SKIP_1) | instid1(VALU_DEP_4)
	v_add_f64 v[24:25], v[24:25], v[66:67]
	v_fma_f64 v[66:67], v[54:55], s[8:9], v[58:59]
	v_add_f64 v[22:23], v[26:27], v[22:23]
	v_fma_f64 v[26:27], v[64:65], s[20:21], v[56:57]
	v_add_f64 v[14:15], v[108:109], v[14:15]
	s_delay_alu instid0(VALU_DEP_4) | instskip(SKIP_3) | instid1(VALU_DEP_3)
	v_add_f64 v[24:25], v[66:67], v[24:25]
	v_mul_f64 v[66:67], v[34:35], s[8:9]
	v_mul_f64 v[34:35], v[34:35], s[16:17]
	v_add_f64 v[26:27], v[26:27], v[78:79]
	v_fma_f64 v[70:71], v[60:61], s[26:27], v[66:67]
	s_delay_alu instid0(VALU_DEP_1) | instskip(SKIP_1) | instid1(VALU_DEP_1)
	v_add_f64 v[26:27], v[70:71], v[26:27]
	v_mul_f64 v[70:71], v[28:29], s[2:3]
	v_fma_f64 v[72:73], v[44:45], s[12:13], v[70:71]
	s_delay_alu instid0(VALU_DEP_1) | instskip(SKIP_2) | instid1(VALU_DEP_2)
	v_add_f64 v[24:25], v[72:73], v[24:25]
	v_mul_f64 v[72:73], v[46:47], s[12:13]
	v_mul_f64 v[46:47], v[46:47], s[24:25]
	v_fma_f64 v[78:79], v[52:53], s[30:31], v[72:73]
	s_delay_alu instid0(VALU_DEP_1) | instskip(SKIP_2) | instid1(VALU_DEP_2)
	v_add_f64 v[26:27], v[78:79], v[26:27]
	v_mul_f64 v[78:79], v[42:43], s[34:35]
	;; [unrolled: 5-line block ×3, first 2 shown]
	v_mul_f64 v[48:49], v[48:49], s[18:19]
	v_fma_f64 v[108:109], v[40:41], s[22:23], v[102:103]
	s_delay_alu instid0(VALU_DEP_1) | instskip(SKIP_1) | instid1(VALU_DEP_1)
	v_add_f64 v[26:27], v[108:109], v[26:27]
	v_mul_f64 v[108:109], v[30:31], s[26:27]
	v_fma_f64 v[30:31], v[62:63], s[8:9], v[108:109]
	s_delay_alu instid0(VALU_DEP_1) | instskip(SKIP_2) | instid1(VALU_DEP_2)
	v_add_f64 v[30:31], v[30:31], v[68:69]
	v_fma_f64 v[68:69], v[64:65], s[36:37], v[32:33]
	v_fma_f64 v[32:33], v[64:65], s[26:27], v[32:33]
	v_add_f64 v[68:69], v[68:69], v[82:83]
	v_fma_f64 v[82:83], v[54:55], s[16:17], v[36:37]
	s_delay_alu instid0(VALU_DEP_3) | instskip(SKIP_1) | instid1(VALU_DEP_3)
	v_add_f64 v[32:33], v[32:33], v[88:89]
	v_fma_f64 v[36:37], v[54:55], s[16:17], -v[36:37]
	v_add_f64 v[30:31], v[82:83], v[30:31]
	v_fma_f64 v[82:83], v[60:61], s[38:39], v[34:35]
	v_fma_f64 v[34:35], v[60:61], s[14:15], v[34:35]
	s_delay_alu instid0(VALU_DEP_2) | instskip(SKIP_1) | instid1(VALU_DEP_3)
	v_add_f64 v[68:69], v[82:83], v[68:69]
	v_mul_f64 v[82:83], v[28:29], s[34:35]
	v_add_f64 v[32:33], v[34:35], v[32:33]
	s_delay_alu instid0(VALU_DEP_2) | instskip(SKIP_1) | instid1(VALU_DEP_2)
	v_fma_f64 v[28:29], v[44:45], s[24:25], v[82:83]
	v_fma_f64 v[34:35], v[44:45], s[24:25], -v[82:83]
	v_add_f64 v[28:29], v[28:29], v[30:31]
	v_fma_f64 v[30:31], v[52:53], s[22:23], v[46:47]
	s_delay_alu instid0(VALU_DEP_1) | instskip(SKIP_1) | instid1(VALU_DEP_1)
	v_add_f64 v[30:31], v[30:31], v[68:69]
	v_fma_f64 v[68:69], v[50:51], s[18:19], v[42:43]
	v_add_f64 v[28:29], v[68:69], v[28:29]
	v_fma_f64 v[68:69], v[40:41], s[28:29], v[48:49]
	s_delay_alu instid0(VALU_DEP_1) | instskip(SKIP_1) | instid1(VALU_DEP_1)
	v_add_f64 v[30:31], v[68:69], v[30:31]
	v_fma_f64 v[68:69], v[62:63], s[8:9], -v[108:109]
	v_add_f64 v[68:69], v[68:69], v[84:85]
	s_delay_alu instid0(VALU_DEP_1) | instskip(NEXT) | instid1(VALU_DEP_1)
	v_add_f64 v[36:37], v[36:37], v[68:69]
	v_add_f64 v[34:35], v[34:35], v[36:37]
	v_fma_f64 v[36:37], v[52:53], s[34:35], v[46:47]
	v_fma_f64 v[46:47], v[40:41], s[34:35], v[102:103]
	s_delay_alu instid0(VALU_DEP_2) | instskip(SKIP_3) | instid1(VALU_DEP_3)
	v_add_f64 v[36:37], v[36:37], v[32:33]
	v_fma_f64 v[32:33], v[50:51], s[18:19], -v[42:43]
	v_fma_f64 v[42:43], v[40:41], s[20:21], v[48:49]
	v_fma_f64 v[48:49], v[54:55], s[18:19], -v[121:122]
	v_add_f64 v[32:33], v[32:33], v[34:35]
	s_delay_alu instid0(VALU_DEP_3) | instskip(SKIP_4) | instid1(VALU_DEP_4)
	v_add_f64 v[34:35], v[42:43], v[36:37]
	v_fma_f64 v[36:37], v[62:63], s[18:19], -v[38:39]
	v_fma_f64 v[38:39], v[64:65], s[28:29], v[56:57]
	v_fma_f64 v[42:43], v[54:55], s[8:9], -v[58:59]
	v_fma_f64 v[54:55], v[60:61], s[20:21], v[92:93]
	v_add_f64 v[36:37], v[36:37], v[80:81]
	s_delay_alu instid0(VALU_DEP_4) | instskip(NEXT) | instid1(VALU_DEP_2)
	v_add_f64 v[38:39], v[38:39], v[74:75]
	v_add_f64 v[36:37], v[42:43], v[36:37]
	v_fma_f64 v[42:43], v[60:61], s[36:37], v[66:67]
	s_delay_alu instid0(VALU_DEP_1) | instskip(SKIP_2) | instid1(VALU_DEP_2)
	v_add_f64 v[38:39], v[42:43], v[38:39]
	v_fma_f64 v[42:43], v[44:45], s[12:13], -v[70:71]
	v_fma_f64 v[44:45], v[44:45], s[16:17], -v[94:95]
	v_add_f64 v[36:37], v[42:43], v[36:37]
	v_fma_f64 v[42:43], v[52:53], s[2:3], v[72:73]
	v_fma_f64 v[52:53], v[52:53], s[14:15], v[96:97]
	s_delay_alu instid0(VALU_DEP_2) | instskip(SKIP_1) | instid1(VALU_DEP_2)
	v_add_f64 v[38:39], v[42:43], v[38:39]
	v_fma_f64 v[42:43], v[50:51], s[24:25], -v[78:79]
	v_add_f64 v[38:39], v[46:47], v[38:39]
	s_delay_alu instid0(VALU_DEP_2)
	v_add_f64 v[36:37], v[42:43], v[36:37]
	ds_store_b128 v123, v[8:11] offset:32
	ds_store_b128 v123, v[12:15] offset:48
	;; [unrolled: 1-line block ×6, first 2 shown]
	v_fma_f64 v[46:47], v[64:65], s[22:23], v[90:91]
	s_clause 0x1
	scratch_load_b128 v[90:93], off, off
	scratch_load_b128 v[94:97], off, off offset:16
	v_fma_f64 v[42:43], v[62:63], s[24:25], -v[106:107]
	s_clause 0x1
	scratch_load_b128 v[135:138], off, off offset:48
	scratch_load_b128 v[108:111], off, off offset:64
	ds_store_b128 v123, v[0:3] offset:16
	ds_store_b128 v123, v[4:7]
	ds_store_b128 v123, v[20:23] offset:128
	ds_store_b128 v123, v[16:19] offset:144
	v_add_f64 v[46:47], v[46:47], v[86:87]
	v_add_f64 v[42:43], v[42:43], v[76:77]
	s_delay_alu instid0(VALU_DEP_2) | instskip(NEXT) | instid1(VALU_DEP_2)
	v_add_f64 v[46:47], v[54:55], v[46:47]
	v_add_f64 v[42:43], v[48:49], v[42:43]
	v_fma_f64 v[48:49], v[50:51], s[12:13], -v[98:99]
	v_fma_f64 v[50:51], v[40:41], s[2:3], v[100:101]
	scratch_load_b128 v[98:101], off, off offset:32 ; 16-byte Folded Reload
	v_add_f64 v[40:41], v[44:45], v[42:43]
	v_add_f64 v[42:43], v[52:53], v[46:47]
	s_delay_alu instid0(VALU_DEP_2) | instskip(NEXT) | instid1(VALU_DEP_2)
	v_add_f64 v[40:41], v[48:49], v[40:41]
	v_add_f64 v[42:43], v[50:51], v[42:43]
	ds_store_b128 v123, v[40:43] offset:160
	s_waitcnt vmcnt(4)
	v_add_f64 v[76:77], v[246:247], -v[92:93]
	v_add_f64 v[74:75], v[244:245], v[90:91]
	s_waitcnt vmcnt(3)
	v_add_f64 v[14:15], v[250:251], -v[96:97]
	v_add_f64 v[82:83], v[244:245], -v[90:91]
	v_add_f64 v[12:13], v[248:249], v[94:95]
	v_add_f64 v[80:81], v[246:247], v[92:93]
	v_add_f64 v[30:31], v[248:249], -v[94:95]
	v_add_f64 v[28:29], v[250:251], v[96:97]
	s_waitcnt vmcnt(2)
	v_add_f64 v[18:19], v[198:199], -v[137:138]
	v_add_f64 v[16:17], v[196:197], v[135:136]
	v_add_f64 v[40:41], v[196:197], -v[135:136]
	v_add_f64 v[38:39], v[198:199], v[137:138]
	s_waitcnt vmcnt(1)
	v_add_f64 v[10:11], v[118:119], -v[110:111]
	v_add_f64 v[8:9], v[116:117], v[108:109]
	v_add_f64 v[24:25], v[116:117], -v[108:109]
	v_add_f64 v[20:21], v[118:119], v[110:111]
	v_mul_f64 v[78:79], v[76:77], s[20:21]
	v_mul_f64 v[86:87], v[76:77], s[14:15]
	;; [unrolled: 1-line block ×16, first 2 shown]
	v_fma_f64 v[0:1], v[74:75], s[18:19], v[78:79]
	v_fma_f64 v[2:3], v[12:13], s[12:13], v[34:35]
	v_fma_f64 v[4:5], v[80:81], s[18:19], -v[84:85]
	v_fma_f64 v[6:7], v[12:13], s[18:19], v[54:55]
	s_waitcnt vmcnt(0)
	v_add_f64 v[26:27], v[254:255], -v[100:101]
	v_add_f64 v[22:23], v[252:253], v[98:99]
	v_add_f64 v[36:37], v[252:253], -v[98:99]
	v_add_f64 v[32:33], v[254:255], v[100:101]
	v_fma_f64 v[56:57], v[28:29], s[18:19], -v[66:67]
	v_add_f64 v[0:1], v[240:241], v[0:1]
	v_mul_f64 v[42:43], v[26:27], s[34:35]
	v_mul_f64 v[60:61], v[26:27], s[36:37]
	;; [unrolled: 1-line block ×4, first 2 shown]
	v_add_f64 v[0:1], v[2:3], v[0:1]
	v_add_f64 v[2:3], v[242:243], v[4:5]
	v_fma_f64 v[4:5], v[28:29], s[12:13], -v[106:107]
	s_delay_alu instid0(VALU_DEP_1) | instskip(SKIP_1) | instid1(VALU_DEP_1)
	v_add_f64 v[2:3], v[4:5], v[2:3]
	v_fma_f64 v[4:5], v[22:23], s[24:25], v[42:43]
	v_add_f64 v[0:1], v[4:5], v[0:1]
	v_fma_f64 v[4:5], v[32:33], s[24:25], -v[46:47]
	s_delay_alu instid0(VALU_DEP_1) | instskip(SKIP_1) | instid1(VALU_DEP_1)
	v_add_f64 v[2:3], v[4:5], v[2:3]
	v_fma_f64 v[4:5], v[16:17], s[8:9], v[44:45]
	;; [unrolled: 5-line block ×4, first 2 shown]
	v_add_f64 v[4:5], v[240:241], v[4:5]
	s_delay_alu instid0(VALU_DEP_1) | instskip(SKIP_1) | instid1(VALU_DEP_1)
	v_add_f64 v[4:5], v[6:7], v[4:5]
	v_fma_f64 v[6:7], v[80:81], s[16:17], -v[88:89]
	v_add_f64 v[6:7], v[242:243], v[6:7]
	s_delay_alu instid0(VALU_DEP_1) | instskip(SKIP_1) | instid1(VALU_DEP_1)
	v_add_f64 v[6:7], v[56:57], v[6:7]
	v_fma_f64 v[56:57], v[22:23], s[8:9], v[60:61]
	v_add_f64 v[4:5], v[56:57], v[4:5]
	v_fma_f64 v[56:57], v[32:33], s[8:9], -v[68:69]
	s_delay_alu instid0(VALU_DEP_1) | instskip(SKIP_1) | instid1(VALU_DEP_1)
	v_add_f64 v[6:7], v[56:57], v[6:7]
	v_fma_f64 v[56:57], v[16:17], s[12:13], v[64:65]
	v_add_f64 v[4:5], v[56:57], v[4:5]
	v_fma_f64 v[56:57], v[38:39], s[12:13], -v[70:71]
	;; [unrolled: 5-line block ×3, first 2 shown]
	s_delay_alu instid0(VALU_DEP_1)
	v_add_f64 v[6:7], v[56:57], v[6:7]
	s_and_saveexec_b32 s1, vcc_lo
	s_cbranch_execz .LBB0_17
; %bb.16:
	v_add_f64 v[58:59], v[240:241], v[244:245]
	v_add_f64 v[56:57], v[242:243], v[246:247]
	v_dual_mov_b32 v143, v142 :: v_dual_mov_b32 v142, v141
	v_dual_mov_b32 v141, v140 :: v_dual_mov_b32 v140, v134
	v_mul_f64 v[244:245], v[10:11], s[20:21]
	v_add_f64 v[58:59], v[58:59], v[248:249]
	v_dual_mov_b32 v249, v93 :: v_dual_mov_b32 v248, v92
	v_dual_mov_b32 v247, v91 :: v_dual_mov_b32 v246, v90
	v_mul_f64 v[90:91], v[80:81], s[16:17]
	v_add_f64 v[56:57], v[56:57], v[250:251]
	v_mul_f64 v[92:93], v[82:83], s[22:23]
	v_add_f64 v[58:59], v[58:59], v[252:253]
	v_dual_mov_b32 v253, v97 :: v_dual_mov_b32 v252, v96
	v_dual_mov_b32 v251, v95 :: v_dual_mov_b32 v250, v94
	v_add_f64 v[88:89], v[88:89], v[90:91]
	v_mul_f64 v[90:91], v[74:75], s[16:17]
	v_add_f64 v[56:57], v[56:57], v[254:255]
	v_dual_mov_b32 v254, v132 :: v_dual_mov_b32 v255, v133
	v_mov_b32_e32 v134, v131
	v_dual_mov_b32 v133, v130 :: v_dual_mov_b32 v132, v129
	v_dual_mov_b32 v131, v128 :: v_dual_mov_b32 v130, v127
	;; [unrolled: 1-line block ×5, first 2 shown]
	v_mov_b32_e32 v123, v112
	v_dual_mov_b32 v115, v101 :: v_dual_mov_b32 v114, v100
	v_fma_f64 v[96:97], v[80:81], s[24:25], -v[92:93]
	v_fma_f64 v[92:93], v[80:81], s[24:25], v[92:93]
	v_dual_mov_b32 v113, v99 :: v_dual_mov_b32 v112, v98
	v_mul_f64 v[100:101], v[76:77], s[22:23]
	v_add_f64 v[58:59], v[58:59], v[196:197]
	v_add_f64 v[88:89], v[242:243], v[88:89]
	v_add_f64 v[86:87], v[90:91], -v[86:87]
	v_mul_f64 v[90:91], v[80:81], s[18:19]
	v_add_f64 v[56:57], v[56:57], v[198:199]
	v_add_f64 v[96:97], v[242:243], v[96:97]
	;; [unrolled: 1-line block ×6, first 2 shown]
	v_mul_f64 v[90:91], v[74:75], s[18:19]
	v_add_f64 v[56:57], v[56:57], v[118:119]
	v_add_f64 v[58:59], v[58:59], v[108:109]
	v_fma_f64 v[108:109], v[74:75], s[24:25], v[100:101]
	v_fma_f64 v[100:101], v[74:75], s[24:25], -v[100:101]
	v_add_f64 v[84:85], v[242:243], v[84:85]
	v_add_f64 v[78:79], v[90:91], -v[78:79]
	v_mul_f64 v[90:91], v[82:83], s[2:3]
	v_mul_f64 v[82:83], v[82:83], s[36:37]
	v_add_f64 v[56:57], v[56:57], v[110:111]
	v_add_f64 v[58:59], v[58:59], v[135:136]
	v_add_f64 v[100:101], v[240:241], v[100:101]
	v_fma_f64 v[94:95], v[80:81], s[12:13], v[90:91]
	v_fma_f64 v[90:91], v[80:81], s[12:13], -v[90:91]
	v_fma_f64 v[98:99], v[80:81], s[8:9], v[82:83]
	v_fma_f64 v[80:81], v[80:81], s[8:9], -v[82:83]
	v_mul_f64 v[82:83], v[76:77], s[2:3]
	v_mul_f64 v[76:77], v[76:77], s[36:37]
	v_add_f64 v[56:57], v[56:57], v[137:138]
	v_add_f64 v[90:91], v[242:243], v[90:91]
	;; [unrolled: 1-line block ×4, first 2 shown]
	v_fma_f64 v[102:103], v[74:75], s[12:13], -v[82:83]
	v_fma_f64 v[82:83], v[74:75], s[12:13], v[82:83]
	v_fma_f64 v[110:111], v[74:75], s[8:9], v[76:77]
	v_fma_f64 v[74:75], v[74:75], s[8:9], -v[76:77]
	v_add_f64 v[76:77], v[242:243], v[94:95]
	v_mul_f64 v[80:81], v[14:15], s[26:27]
	v_mul_f64 v[242:243], v[24:25], s[20:21]
	v_add_f64 v[94:95], v[240:241], v[102:103]
	v_add_f64 v[102:103], v[240:241], v[108:109]
	;; [unrolled: 1-line block ×3, first 2 shown]
	v_mul_f64 v[78:79], v[30:31], s[26:27]
	v_add_f64 v[118:119], v[240:241], v[74:75]
	v_add_f64 v[82:83], v[240:241], v[82:83]
	;; [unrolled: 1-line block ×3, first 2 shown]
	s_delay_alu instid0(VALU_DEP_4) | instskip(SKIP_1) | instid1(VALU_DEP_2)
	v_fma_f64 v[74:75], v[28:29], s[8:9], v[78:79]
	v_fma_f64 v[78:79], v[28:29], s[8:9], -v[78:79]
	v_add_f64 v[74:75], v[74:75], v[76:77]
	v_fma_f64 v[76:77], v[12:13], s[8:9], -v[80:81]
	v_fma_f64 v[80:81], v[12:13], s[8:9], v[80:81]
	s_delay_alu instid0(VALU_DEP_4) | instskip(SKIP_1) | instid1(VALU_DEP_4)
	v_add_f64 v[78:79], v[78:79], v[90:91]
	v_fma_f64 v[90:91], v[8:9], s[18:19], v[244:245]
	v_add_f64 v[76:77], v[76:77], v[94:95]
	v_mul_f64 v[94:95], v[36:37], s[14:15]
	v_add_f64 v[80:81], v[80:81], v[82:83]
	s_delay_alu instid0(VALU_DEP_2) | instskip(SKIP_3) | instid1(VALU_DEP_4)
	v_fma_f64 v[121:122], v[32:33], s[16:17], v[94:95]
	v_fma_f64 v[82:83], v[32:33], s[16:17], -v[94:95]
	v_mul_f64 v[94:95], v[10:11], s[26:27]
	v_mul_f64 v[10:11], v[10:11], s[2:3]
	v_add_f64 v[74:75], v[121:122], v[74:75]
	v_mul_f64 v[121:122], v[26:27], s[14:15]
	v_add_f64 v[78:79], v[82:83], v[78:79]
	s_delay_alu instid0(VALU_DEP_2) | instskip(SKIP_1) | instid1(VALU_DEP_2)
	v_fma_f64 v[196:197], v[22:23], s[16:17], -v[121:122]
	v_fma_f64 v[82:83], v[22:23], s[16:17], v[121:122]
	v_add_f64 v[76:77], v[196:197], v[76:77]
	v_mul_f64 v[196:197], v[40:41], s[34:35]
	s_delay_alu instid0(VALU_DEP_3) | instskip(NEXT) | instid1(VALU_DEP_2)
	v_add_f64 v[80:81], v[82:83], v[80:81]
	v_fma_f64 v[198:199], v[38:39], s[24:25], v[196:197]
	v_fma_f64 v[82:83], v[38:39], s[24:25], -v[196:197]
	s_delay_alu instid0(VALU_DEP_2) | instskip(SKIP_1) | instid1(VALU_DEP_3)
	v_add_f64 v[74:75], v[198:199], v[74:75]
	v_mul_f64 v[198:199], v[18:19], s[34:35]
	v_add_f64 v[78:79], v[82:83], v[78:79]
	s_delay_alu instid0(VALU_DEP_2) | instskip(SKIP_1) | instid1(VALU_DEP_2)
	v_fma_f64 v[82:83], v[16:17], s[24:25], v[198:199]
	v_fma_f64 v[240:241], v[16:17], s[24:25], -v[198:199]
	v_add_f64 v[82:83], v[82:83], v[80:81]
	v_fma_f64 v[80:81], v[20:21], s[18:19], -v[242:243]
	s_delay_alu instid0(VALU_DEP_3) | instskip(SKIP_1) | instid1(VALU_DEP_3)
	v_add_f64 v[240:241], v[240:241], v[76:77]
	v_fma_f64 v[76:77], v[20:21], s[18:19], v[242:243]
	v_add_f64 v[80:81], v[80:81], v[78:79]
	v_add_f64 v[78:79], v[90:91], v[82:83]
	v_mul_f64 v[82:83], v[28:29], s[18:19]
	v_mul_f64 v[90:91], v[24:25], s[26:27]
	v_add_f64 v[76:77], v[76:77], v[74:75]
	v_fma_f64 v[74:75], v[8:9], s[18:19], -v[244:245]
	s_delay_alu instid0(VALU_DEP_4) | instskip(SKIP_1) | instid1(VALU_DEP_3)
	v_add_f64 v[66:67], v[66:67], v[82:83]
	v_mul_f64 v[82:83], v[12:13], s[18:19]
	v_add_f64 v[74:75], v[74:75], v[240:241]
	s_delay_alu instid0(VALU_DEP_3) | instskip(NEXT) | instid1(VALU_DEP_3)
	v_add_f64 v[66:67], v[66:67], v[88:89]
	v_add_f64 v[54:55], v[82:83], -v[54:55]
	v_mul_f64 v[82:83], v[32:33], s[8:9]
	s_delay_alu instid0(VALU_DEP_2) | instskip(NEXT) | instid1(VALU_DEP_2)
	v_add_f64 v[54:55], v[54:55], v[86:87]
	v_add_f64 v[68:69], v[68:69], v[82:83]
	v_mul_f64 v[82:83], v[22:23], s[8:9]
	s_delay_alu instid0(VALU_DEP_2) | instskip(NEXT) | instid1(VALU_DEP_2)
	v_add_f64 v[66:67], v[68:69], v[66:67]
	v_add_f64 v[60:61], v[82:83], -v[60:61]
	v_mul_f64 v[82:83], v[38:39], s[12:13]
	v_mul_f64 v[68:69], v[14:15], s[14:15]
	;; [unrolled: 1-line block ×3, first 2 shown]
	s_delay_alu instid0(VALU_DEP_4) | instskip(NEXT) | instid1(VALU_DEP_4)
	v_add_f64 v[54:55], v[60:61], v[54:55]
	v_add_f64 v[70:71], v[70:71], v[82:83]
	v_mul_f64 v[82:83], v[16:17], s[12:13]
	v_mul_f64 v[60:61], v[8:9], s[24:25]
	s_delay_alu instid0(VALU_DEP_2) | instskip(NEXT) | instid1(VALU_DEP_2)
	v_add_f64 v[64:65], v[82:83], -v[64:65]
	v_add_f64 v[60:61], v[60:61], -v[62:63]
	v_mul_f64 v[82:83], v[20:21], s[24:25]
	v_add_f64 v[62:63], v[70:71], v[66:67]
	v_mul_f64 v[70:71], v[36:37], s[30:31]
	v_fma_f64 v[66:67], v[12:13], s[16:17], v[68:69]
	v_add_f64 v[54:55], v[64:65], v[54:55]
	v_add_f64 v[72:73], v[72:73], v[82:83]
	s_delay_alu instid0(VALU_DEP_3) | instskip(NEXT) | instid1(VALU_DEP_3)
	v_add_f64 v[66:67], v[66:67], v[102:103]
	v_add_f64 v[60:61], v[60:61], v[54:55]
	;; [unrolled: 1-line block ×4, first 2 shown]
	v_mul_f64 v[58:59], v[30:31], s[14:15]
	v_add_f64 v[62:63], v[72:73], v[62:63]
	v_fma_f64 v[72:73], v[32:33], s[12:13], -v[70:71]
	v_mul_f64 v[30:31], v[30:31], s[22:23]
	v_dual_mov_b32 v112, v123 :: v_dual_mov_b32 v113, v124
	v_dual_mov_b32 v114, v125 :: v_dual_mov_b32 v115, v126
	v_mov_b32_e32 v124, v127
	v_dual_mov_b32 v125, v128 :: v_dual_mov_b32 v126, v129
	v_dual_mov_b32 v127, v130 :: v_dual_mov_b32 v128, v131
	;; [unrolled: 1-line block ×6, first 2 shown]
	v_mov_b32_e32 v132, v254
	v_add_f64 v[54:55], v[54:55], v[252:253]
	v_add_f64 v[56:57], v[56:57], v[250:251]
	v_fma_f64 v[64:65], v[28:29], s[16:17], -v[58:59]
	v_fma_f64 v[58:59], v[28:29], s[16:17], v[58:59]
	s_delay_alu instid0(VALU_DEP_2) | instskip(SKIP_1) | instid1(VALU_DEP_3)
	v_add_f64 v[64:65], v[64:65], v[96:97]
	v_mul_f64 v[96:97], v[12:13], s[12:13]
	v_add_f64 v[58:59], v[58:59], v[92:93]
	s_delay_alu instid0(VALU_DEP_3) | instskip(SKIP_1) | instid1(VALU_DEP_4)
	v_add_f64 v[64:65], v[72:73], v[64:65]
	v_mul_f64 v[72:73], v[26:27], s[30:31]
	v_add_f64 v[34:35], v[96:97], -v[34:35]
	v_mul_f64 v[96:97], v[32:33], s[24:25]
	v_mul_f64 v[26:27], v[26:27], s[20:21]
	s_delay_alu instid0(VALU_DEP_4) | instskip(NEXT) | instid1(VALU_DEP_4)
	v_fma_f64 v[82:83], v[22:23], s[12:13], v[72:73]
	v_add_f64 v[34:35], v[34:35], v[108:109]
	s_delay_alu instid0(VALU_DEP_4) | instskip(SKIP_1) | instid1(VALU_DEP_4)
	v_add_f64 v[46:47], v[46:47], v[96:97]
	v_mul_f64 v[96:97], v[22:23], s[24:25]
	v_add_f64 v[66:67], v[82:83], v[66:67]
	v_mul_f64 v[82:83], v[40:41], s[28:29]
	s_delay_alu instid0(VALU_DEP_3) | instskip(SKIP_1) | instid1(VALU_DEP_3)
	v_add_f64 v[42:43], v[96:97], -v[42:43]
	v_mul_f64 v[96:97], v[38:39], s[8:9]
	v_fma_f64 v[86:87], v[38:39], s[18:19], -v[82:83]
	s_delay_alu instid0(VALU_DEP_3) | instskip(NEXT) | instid1(VALU_DEP_3)
	v_add_f64 v[34:35], v[42:43], v[34:35]
	v_add_f64 v[50:51], v[50:51], v[96:97]
	v_mul_f64 v[96:97], v[16:17], s[8:9]
	s_delay_alu instid0(VALU_DEP_4) | instskip(SKIP_2) | instid1(VALU_DEP_4)
	v_add_f64 v[64:65], v[86:87], v[64:65]
	v_mul_f64 v[86:87], v[18:19], s[28:29]
	v_mul_f64 v[18:19], v[18:19], s[14:15]
	v_add_f64 v[44:45], v[96:97], -v[44:45]
	v_mul_f64 v[96:97], v[20:21], s[16:17]
	s_delay_alu instid0(VALU_DEP_4) | instskip(SKIP_1) | instid1(VALU_DEP_4)
	v_fma_f64 v[88:89], v[16:17], s[18:19], v[86:87]
	v_fma_f64 v[86:87], v[16:17], s[18:19], -v[86:87]
	v_add_f64 v[34:35], v[44:45], v[34:35]
	s_delay_alu instid0(VALU_DEP_4) | instskip(SKIP_3) | instid1(VALU_DEP_3)
	v_add_f64 v[52:53], v[52:53], v[96:97]
	v_mul_f64 v[96:97], v[8:9], s[16:17]
	v_add_f64 v[88:89], v[88:89], v[66:67]
	v_fma_f64 v[66:67], v[20:21], s[8:9], -v[90:91]
	v_add_f64 v[48:49], v[96:97], -v[48:49]
	v_fma_f64 v[96:97], v[28:29], s[24:25], v[30:31]
	s_delay_alu instid0(VALU_DEP_3) | instskip(SKIP_1) | instid1(VALU_DEP_1)
	v_add_f64 v[66:67], v[66:67], v[64:65]
	v_fma_f64 v[64:65], v[8:9], s[8:9], v[94:95]
	v_add_f64 v[64:65], v[64:65], v[88:89]
	v_mul_f64 v[88:89], v[28:29], s[12:13]
	v_fma_f64 v[28:29], v[28:29], s[24:25], -v[30:31]
	v_fma_f64 v[30:31], v[12:13], s[16:17], -v[68:69]
	;; [unrolled: 1-line block ×3, first 2 shown]
	v_fma_f64 v[12:13], v[12:13], s[24:25], v[14:15]
	v_mul_f64 v[14:15], v[36:37], s[20:21]
	v_fma_f64 v[36:37], v[32:33], s[12:13], v[70:71]
	v_add_f64 v[88:89], v[106:107], v[88:89]
	v_add_f64 v[28:29], v[28:29], v[116:117]
	;; [unrolled: 1-line block ×4, first 2 shown]
	v_fma_f64 v[70:71], v[32:33], s[18:19], v[14:15]
	v_fma_f64 v[14:15], v[32:33], s[18:19], -v[14:15]
	v_fma_f64 v[32:33], v[22:23], s[12:13], -v[72:73]
	;; [unrolled: 1-line block ×3, first 2 shown]
	v_fma_f64 v[22:23], v[22:23], s[18:19], v[26:27]
	v_mul_f64 v[26:27], v[40:41], s[14:15]
	v_fma_f64 v[40:41], v[38:39], s[18:19], v[82:83]
	v_add_f64 v[36:37], v[36:37], v[58:59]
	v_add_f64 v[14:15], v[14:15], v[28:29]
	;; [unrolled: 1-line block ×4, first 2 shown]
	v_fma_f64 v[82:83], v[38:39], s[16:17], v[26:27]
	v_fma_f64 v[26:27], v[38:39], s[16:17], -v[26:27]
	v_add_f64 v[38:39], v[88:89], v[84:85]
	v_add_f64 v[84:85], v[96:97], v[98:99]
	v_fma_f64 v[88:89], v[16:17], s[16:17], -v[18:19]
	v_fma_f64 v[16:17], v[16:17], s[16:17], v[18:19]
	v_add_f64 v[18:19], v[68:69], v[118:119]
	v_mul_f64 v[22:23], v[24:25], s[2:3]
	v_fma_f64 v[24:25], v[20:21], s[8:9], v[90:91]
	v_add_f64 v[36:37], v[40:41], v[36:37]
	v_fma_f64 v[40:41], v[8:9], s[12:13], -v[10:11]
	v_add_f64 v[30:31], v[86:87], v[30:31]
	v_add_f64 v[26:27], v[26:27], v[14:15]
	;; [unrolled: 1-line block ×6, first 2 shown]
	v_fma_f64 v[28:29], v[20:21], s[12:13], v[22:23]
	v_fma_f64 v[20:21], v[20:21], s[12:13], -v[22:23]
	v_fma_f64 v[12:13], v[8:9], s[8:9], -v[94:95]
	v_add_f64 v[14:15], v[24:25], v[36:37]
	v_add_f64 v[24:25], v[56:57], v[246:247]
	;; [unrolled: 1-line block ×4, first 2 shown]
	v_fma_f64 v[38:39], v[8:9], s[12:13], v[10:11]
	v_add_f64 v[8:9], v[48:49], v[34:35]
	v_add_f64 v[42:43], v[88:89], v[18:19]
	;; [unrolled: 1-line block ×5, first 2 shown]
	scratch_load_b32 v28, off, off offset:612 ; 4-byte Folded Reload
	v_add_f64 v[22:23], v[20:21], v[26:27]
	v_add_f64 v[20:21], v[38:39], v[16:17]
	;; [unrolled: 1-line block ×4, first 2 shown]
	s_waitcnt vmcnt(0)
	v_lshlrev_b32_e32 v28, 4, v28
	ds_store_b128 v28, v[0:3] offset:48
	ds_store_b128 v28, v[64:67] offset:32
	;; [unrolled: 1-line block ×9, first 2 shown]
	ds_store_b128 v28, v[24:27]
	ds_store_b128 v28, v[16:19] offset:160
.LBB0_17:
	s_or_b32 exec_lo, exec_lo, s1
	s_waitcnt lgkmcnt(0)
	s_barrier
	buffer_gl0_inv
	ds_load_b128 v[12:15], v120
	ds_load_b128 v[16:19], v120 offset:1760
	ds_load_b128 v[68:71], v120 offset:14960
	;; [unrolled: 1-line block ×13, first 2 shown]
	s_and_saveexec_b32 s1, s0
	s_cbranch_execz .LBB0_19
; %bb.18:
	ds_load_b128 v[0:3], v120 offset:12320
	ds_load_b128 v[4:7], v120 offset:25520
.LBB0_19:
	s_or_b32 exec_lo, exec_lo, s1
	s_clause 0x1
	scratch_load_b128 v[60:63], off, off offset:404
	scratch_load_b128 v[64:67], off, off offset:372
	s_waitcnt vmcnt(1) lgkmcnt(3)
	v_mul_f64 v[56:57], v[62:63], v[118:119]
	v_mul_f64 v[58:59], v[62:63], v[116:117]
	s_waitcnt vmcnt(0)
	v_mul_f64 v[62:63], v[66:67], v[68:69]
	s_delay_alu instid0(VALU_DEP_3) | instskip(NEXT) | instid1(VALU_DEP_3)
	v_fma_f64 v[56:57], v[60:61], v[116:117], v[56:57]
	v_fma_f64 v[58:59], v[60:61], v[118:119], -v[58:59]
	v_mul_f64 v[60:61], v[66:67], v[70:71]
	s_delay_alu instid0(VALU_DEP_4)
	v_fma_f64 v[62:63], v[64:65], v[70:71], -v[62:63]
	scratch_load_b128 v[70:73], off, off offset:420 ; 16-byte Folded Reload
	v_fma_f64 v[60:61], v[64:65], v[68:69], v[60:61]
	scratch_load_b128 v[66:69], off, off offset:452 ; 16-byte Folded Reload
	s_waitcnt vmcnt(0)
	v_mul_f64 v[64:65], v[68:69], v[54:55]
	s_delay_alu instid0(VALU_DEP_1) | instskip(SKIP_1) | instid1(VALU_DEP_1)
	v_fma_f64 v[64:65], v[66:67], v[52:53], v[64:65]
	v_mul_f64 v[52:53], v[68:69], v[52:53]
	v_fma_f64 v[52:53], v[66:67], v[54:55], -v[52:53]
	scratch_load_b128 v[66:69], off, off offset:436 ; 16-byte Folded Reload
	s_waitcnt vmcnt(0)
	v_mul_f64 v[54:55], v[68:69], v[46:47]
	s_delay_alu instid0(VALU_DEP_1) | instskip(SKIP_1) | instid1(VALU_DEP_1)
	v_fma_f64 v[54:55], v[66:67], v[44:45], v[54:55]
	v_mul_f64 v[44:45], v[68:69], v[44:45]
	v_fma_f64 v[66:67], v[66:67], v[46:47], -v[44:45]
	v_mul_f64 v[44:45], v[72:73], v[42:43]
	v_add_f64 v[46:47], v[26:27], -v[52:53]
	s_delay_alu instid0(VALU_DEP_2) | instskip(SKIP_1) | instid1(VALU_DEP_3)
	v_fma_f64 v[68:69], v[70:71], v[40:41], v[44:45]
	v_mul_f64 v[40:41], v[72:73], v[40:41]
	v_fma_f64 v[26:27], v[26:27], 2.0, -v[46:47]
	s_delay_alu instid0(VALU_DEP_3) | instskip(NEXT) | instid1(VALU_DEP_3)
	v_add_f64 v[52:53], v[32:33], -v[68:69]
	v_fma_f64 v[70:71], v[70:71], v[42:43], -v[40:41]
	scratch_load_b128 v[42:45], off, off offset:388 ; 16-byte Folded Reload
	v_fma_f64 v[32:33], v[32:33], 2.0, -v[52:53]
	s_waitcnt vmcnt(0) lgkmcnt(1)
	v_mul_f64 v[40:41], v[44:45], v[50:51]
	s_delay_alu instid0(VALU_DEP_1) | instskip(SKIP_3) | instid1(VALU_DEP_3)
	v_fma_f64 v[72:73], v[42:43], v[48:49], v[40:41]
	v_mul_f64 v[40:41], v[44:45], v[48:49]
	v_add_f64 v[48:49], v[20:21], -v[54:55]
	v_add_f64 v[54:55], v[34:35], -v[70:71]
	v_fma_f64 v[74:75], v[42:43], v[50:51], -v[40:41]
	scratch_load_b128 v[42:45], off, off offset:468 ; 16-byte Folded Reload
	v_add_f64 v[50:51], v[22:23], -v[66:67]
	v_fma_f64 v[20:21], v[20:21], 2.0, -v[48:49]
	v_fma_f64 v[34:35], v[34:35], 2.0, -v[54:55]
	s_waitcnt vmcnt(0) lgkmcnt(0)
	s_barrier
	buffer_gl0_inv
	v_fma_f64 v[22:23], v[22:23], 2.0, -v[50:51]
	v_mul_f64 v[40:41], v[44:45], v[38:39]
	s_delay_alu instid0(VALU_DEP_1) | instskip(SKIP_3) | instid1(VALU_DEP_4)
	v_fma_f64 v[76:77], v[42:43], v[36:37], v[40:41]
	v_mul_f64 v[36:37], v[44:45], v[36:37]
	v_add_f64 v[40:41], v[16:17], -v[60:61]
	v_add_f64 v[44:45], v[24:25], -v[64:65]
	;; [unrolled: 1-line block ×3, first 2 shown]
	s_delay_alu instid0(VALU_DEP_4)
	v_fma_f64 v[78:79], v[42:43], v[38:39], -v[36:37]
	v_add_f64 v[36:37], v[12:13], -v[56:57]
	v_add_f64 v[38:39], v[14:15], -v[58:59]
	;; [unrolled: 1-line block ×5, first 2 shown]
	v_fma_f64 v[16:17], v[16:17], 2.0, -v[40:41]
	v_fma_f64 v[24:25], v[24:25], 2.0, -v[44:45]
	;; [unrolled: 1-line block ×3, first 2 shown]
	v_add_f64 v[62:63], v[10:11], -v[78:79]
	v_fma_f64 v[12:13], v[12:13], 2.0, -v[36:37]
	v_fma_f64 v[14:15], v[14:15], 2.0, -v[38:39]
	v_fma_f64 v[18:19], v[18:19], 2.0, -v[42:43]
	v_fma_f64 v[28:29], v[28:29], 2.0, -v[56:57]
	v_fma_f64 v[30:31], v[30:31], 2.0, -v[58:59]
	v_fma_f64 v[10:11], v[10:11], 2.0, -v[62:63]
	ds_store_b128 v140, v[36:39] offset:176
	ds_store_b128 v140, v[12:15]
	ds_store_b128 v200, v[16:19]
	ds_store_b128 v200, v[40:43] offset:176
	ds_store_b128 v142, v[24:27]
	ds_store_b128 v142, v[44:47] offset:176
	;; [unrolled: 2-line block ×6, first 2 shown]
	s_and_saveexec_b32 s1, s0
	s_cbranch_execz .LBB0_21
; %bb.20:
	v_mul_f64 v[8:9], v[114:115], v[4:5]
	v_mul_f64 v[10:11], v[114:115], v[6:7]
	s_delay_alu instid0(VALU_DEP_2) | instskip(NEXT) | instid1(VALU_DEP_2)
	v_fma_f64 v[6:7], v[112:113], v[6:7], -v[8:9]
	v_fma_f64 v[4:5], v[112:113], v[4:5], v[10:11]
	v_and_b32_e32 v8, 0xffff, v139
	s_delay_alu instid0(VALU_DEP_1) | instskip(NEXT) | instid1(VALU_DEP_4)
	v_lshlrev_b32_e32 v8, 4, v8
	v_add_f64 v[6:7], v[2:3], -v[6:7]
	s_delay_alu instid0(VALU_DEP_4) | instskip(NEXT) | instid1(VALU_DEP_2)
	v_add_f64 v[4:5], v[0:1], -v[4:5]
	v_fma_f64 v[2:3], v[2:3], 2.0, -v[6:7]
	s_delay_alu instid0(VALU_DEP_2)
	v_fma_f64 v[0:1], v[0:1], 2.0, -v[4:5]
	ds_store_b128 v8, v[0:3]
	ds_store_b128 v8, v[4:7] offset:176
.LBB0_21:
	s_or_b32 exec_lo, exec_lo, s1
	s_waitcnt lgkmcnt(0)
	s_barrier
	buffer_gl0_inv
	ds_load_b128 v[0:3], v120 offset:8800
	ds_load_b128 v[4:7], v120 offset:7040
	s_mov_b32 s0, 0xe8584caa
	s_mov_b32 s1, 0xbfebb67a
	;; [unrolled: 1-line block ×10, first 2 shown]
	s_waitcnt lgkmcnt(1)
	v_mul_f64 v[8:9], v[158:159], v[2:3]
	s_delay_alu instid0(VALU_DEP_1) | instskip(SKIP_1) | instid1(VALU_DEP_1)
	v_fma_f64 v[16:17], v[156:157], v[0:1], v[8:9]
	v_mul_f64 v[0:1], v[158:159], v[0:1]
	v_fma_f64 v[18:19], v[156:157], v[2:3], -v[0:1]
	ds_load_b128 v[0:3], v120 offset:17600
	ds_load_b128 v[8:11], v120 offset:19360
	s_waitcnt lgkmcnt(1)
	v_mul_f64 v[12:13], v[154:155], v[2:3]
	s_delay_alu instid0(VALU_DEP_1) | instskip(SKIP_1) | instid1(VALU_DEP_1)
	v_fma_f64 v[20:21], v[152:153], v[0:1], v[12:13]
	v_mul_f64 v[0:1], v[154:155], v[0:1]
	v_fma_f64 v[22:23], v[152:153], v[2:3], -v[0:1]
	ds_load_b128 v[0:3], v120 offset:10560
	ds_load_b128 v[12:15], v120 offset:12320
	s_waitcnt lgkmcnt(1)
	v_mul_f64 v[24:25], v[146:147], v[2:3]
	s_delay_alu instid0(VALU_DEP_1) | instskip(SKIP_1) | instid1(VALU_DEP_1)
	v_fma_f64 v[28:29], v[144:145], v[0:1], v[24:25]
	v_mul_f64 v[0:1], v[146:147], v[0:1]
	v_fma_f64 v[30:31], v[144:145], v[2:3], -v[0:1]
	v_mul_f64 v[0:1], v[150:151], v[10:11]
	s_delay_alu instid0(VALU_DEP_1) | instskip(SKIP_1) | instid1(VALU_DEP_1)
	v_fma_f64 v[32:33], v[148:149], v[8:9], v[0:1]
	v_mul_f64 v[0:1], v[150:151], v[8:9]
	v_fma_f64 v[34:35], v[148:149], v[10:11], -v[0:1]
	s_waitcnt lgkmcnt(0)
	v_mul_f64 v[0:1], v[130:131], v[14:15]
	s_delay_alu instid0(VALU_DEP_1) | instskip(SKIP_1) | instid1(VALU_DEP_1)
	v_fma_f64 v[36:37], v[128:129], v[12:13], v[0:1]
	v_mul_f64 v[0:1], v[130:131], v[12:13]
	v_fma_f64 v[38:39], v[128:129], v[14:15], -v[0:1]
	ds_load_b128 v[0:3], v120 offset:21120
	ds_load_b128 v[8:11], v120 offset:22880
	s_waitcnt lgkmcnt(1)
	v_mul_f64 v[12:13], v[126:127], v[2:3]
	s_delay_alu instid0(VALU_DEP_1) | instskip(SKIP_1) | instid1(VALU_DEP_1)
	v_fma_f64 v[40:41], v[124:125], v[0:1], v[12:13]
	v_mul_f64 v[0:1], v[126:127], v[0:1]
	v_fma_f64 v[42:43], v[124:125], v[2:3], -v[0:1]
	ds_load_b128 v[0:3], v120 offset:14080
	ds_load_b128 v[12:15], v120 offset:15840
	scratch_load_b128 v[46:49], off, off offset:308 ; 16-byte Folded Reload
	s_waitcnt vmcnt(0) lgkmcnt(1)
	v_mul_f64 v[24:25], v[48:49], v[2:3]
	s_delay_alu instid0(VALU_DEP_1) | instskip(SKIP_2) | instid1(VALU_DEP_1)
	v_fma_f64 v[44:45], v[46:47], v[0:1], v[24:25]
	scratch_load_b128 v[24:27], off, off offset:324 ; 16-byte Folded Reload
	v_mul_f64 v[0:1], v[48:49], v[0:1]
	v_fma_f64 v[46:47], v[46:47], v[2:3], -v[0:1]
	s_waitcnt vmcnt(0)
	v_mul_f64 v[0:1], v[26:27], v[10:11]
	s_delay_alu instid0(VALU_DEP_1) | instskip(SKIP_1) | instid1(VALU_DEP_1)
	v_fma_f64 v[48:49], v[24:25], v[8:9], v[0:1]
	v_mul_f64 v[0:1], v[26:27], v[8:9]
	v_fma_f64 v[50:51], v[24:25], v[10:11], -v[0:1]
	scratch_load_b128 v[8:11], off, off offset:484 ; 16-byte Folded Reload
	s_waitcnt vmcnt(0) lgkmcnt(0)
	v_mul_f64 v[0:1], v[10:11], v[14:15]
	s_delay_alu instid0(VALU_DEP_1)
	v_fma_f64 v[52:53], v[8:9], v[12:13], v[0:1]
	v_mul_f64 v[0:1], v[10:11], v[12:13]
	scratch_load_b128 v[10:13], off, off offset:500 ; 16-byte Folded Reload
	v_fma_f64 v[54:55], v[8:9], v[14:15], -v[0:1]
	ds_load_b128 v[0:3], v120 offset:24640
	s_waitcnt vmcnt(0) lgkmcnt(0)
	v_mul_f64 v[8:9], v[12:13], v[2:3]
	s_delay_alu instid0(VALU_DEP_1) | instskip(SKIP_2) | instid1(VALU_DEP_2)
	v_fma_f64 v[56:57], v[10:11], v[0:1], v[8:9]
	v_mul_f64 v[0:1], v[12:13], v[0:1]
	v_add_f64 v[12:13], v[16:17], v[20:21]
	v_fma_f64 v[58:59], v[10:11], v[2:3], -v[0:1]
	ds_load_b128 v[0:3], v120
	ds_load_b128 v[8:11], v120 offset:1760
	s_waitcnt lgkmcnt(1)
	v_fma_f64 v[14:15], v[12:13], -0.5, v[0:1]
	v_add_f64 v[12:13], v[18:19], v[22:23]
	v_add_f64 v[0:1], v[0:1], v[16:17]
	s_delay_alu instid0(VALU_DEP_2) | instskip(SKIP_2) | instid1(VALU_DEP_4)
	v_fma_f64 v[24:25], v[12:13], -0.5, v[2:3]
	v_add_f64 v[2:3], v[2:3], v[18:19]
	v_add_f64 v[18:19], v[18:19], -v[22:23]
	v_add_f64 v[0:1], v[0:1], v[20:21]
	v_add_f64 v[20:21], v[16:17], -v[20:21]
	s_delay_alu instid0(VALU_DEP_4) | instskip(NEXT) | instid1(VALU_DEP_4)
	v_add_f64 v[2:3], v[2:3], v[22:23]
	v_fma_f64 v[12:13], v[18:19], s[0:1], v[14:15]
	v_fma_f64 v[16:17], v[18:19], s[2:3], v[14:15]
	s_delay_alu instid0(VALU_DEP_4)
	v_fma_f64 v[14:15], v[20:21], s[2:3], v[24:25]
	v_fma_f64 v[18:19], v[20:21], s[0:1], v[24:25]
	ds_load_b128 v[20:23], v120 offset:3520
	ds_load_b128 v[24:27], v120 offset:5280
	s_waitcnt lgkmcnt(0)
	s_barrier
	buffer_gl0_inv
	ds_store_b128 v168, v[0:3]
	ds_store_b128 v168, v[12:15] offset:352
	ds_store_b128 v168, v[16:19] offset:704
	v_add_f64 v[0:1], v[28:29], v[32:33]
	v_add_f64 v[16:17], v[28:29], -v[32:33]
	s_delay_alu instid0(VALU_DEP_2) | instskip(SKIP_2) | instid1(VALU_DEP_2)
	v_fma_f64 v[12:13], v[0:1], -0.5, v[8:9]
	v_add_f64 v[0:1], v[30:31], v[34:35]
	v_add_f64 v[8:9], v[8:9], v[28:29]
	v_fma_f64 v[14:15], v[0:1], -0.5, v[10:11]
	v_add_f64 v[0:1], v[10:11], v[30:31]
	v_add_f64 v[10:11], v[30:31], -v[34:35]
	s_delay_alu instid0(VALU_DEP_2) | instskip(SKIP_1) | instid1(VALU_DEP_3)
	v_add_f64 v[2:3], v[0:1], v[34:35]
	v_add_f64 v[0:1], v[8:9], v[32:33]
	v_fma_f64 v[8:9], v[10:11], s[0:1], v[12:13]
	v_fma_f64 v[12:13], v[10:11], s[2:3], v[12:13]
	;; [unrolled: 1-line block ×4, first 2 shown]
	v_add_f64 v[16:17], v[36:37], -v[40:41]
	ds_store_b128 v171, v[0:3]
	ds_store_b128 v171, v[8:11] offset:352
	ds_store_b128 v171, v[12:15] offset:704
	v_add_f64 v[0:1], v[36:37], v[40:41]
	v_add_f64 v[8:9], v[20:21], v[36:37]
	v_add_f64 v[12:13], v[38:39], -v[42:43]
	s_delay_alu instid0(VALU_DEP_3) | instskip(SKIP_1) | instid1(VALU_DEP_1)
	v_fma_f64 v[10:11], v[0:1], -0.5, v[20:21]
	v_add_f64 v[0:1], v[38:39], v[42:43]
	v_fma_f64 v[14:15], v[0:1], -0.5, v[22:23]
	v_add_f64 v[0:1], v[22:23], v[38:39]
	s_delay_alu instid0(VALU_DEP_1)
	v_add_f64 v[2:3], v[0:1], v[42:43]
	v_add_f64 v[0:1], v[8:9], v[40:41]
	v_fma_f64 v[8:9], v[12:13], s[0:1], v[10:11]
	v_fma_f64 v[12:13], v[12:13], s[2:3], v[10:11]
	;; [unrolled: 1-line block ×4, first 2 shown]
	ds_store_b128 v170, v[0:3]
	ds_store_b128 v170, v[8:11] offset:352
	ds_store_b128 v170, v[12:15] offset:704
	v_add_f64 v[0:1], v[44:45], v[48:49]
	v_add_f64 v[8:9], v[24:25], v[44:45]
	v_add_f64 v[12:13], v[46:47], -v[50:51]
	v_add_f64 v[16:17], v[44:45], -v[48:49]
	s_delay_alu instid0(VALU_DEP_4) | instskip(SKIP_1) | instid1(VALU_DEP_1)
	v_fma_f64 v[10:11], v[0:1], -0.5, v[24:25]
	v_add_f64 v[0:1], v[46:47], v[50:51]
	v_fma_f64 v[14:15], v[0:1], -0.5, v[26:27]
	v_add_f64 v[0:1], v[26:27], v[46:47]
	s_delay_alu instid0(VALU_DEP_1)
	v_add_f64 v[2:3], v[0:1], v[50:51]
	v_add_f64 v[0:1], v[8:9], v[48:49]
	v_fma_f64 v[8:9], v[12:13], s[0:1], v[10:11]
	v_fma_f64 v[12:13], v[12:13], s[2:3], v[10:11]
	;; [unrolled: 1-line block ×4, first 2 shown]
	ds_store_b128 v169, v[0:3]
	ds_store_b128 v169, v[8:11] offset:352
	ds_store_b128 v169, v[12:15] offset:704
	v_add_f64 v[0:1], v[52:53], v[56:57]
	v_add_f64 v[12:13], v[52:53], -v[56:57]
	s_delay_alu instid0(VALU_DEP_2) | instskip(SKIP_2) | instid1(VALU_DEP_2)
	v_fma_f64 v[8:9], v[0:1], -0.5, v[4:5]
	v_add_f64 v[0:1], v[54:55], v[58:59]
	v_add_f64 v[4:5], v[4:5], v[52:53]
	v_fma_f64 v[10:11], v[0:1], -0.5, v[6:7]
	v_add_f64 v[0:1], v[6:7], v[54:55]
	v_add_f64 v[6:7], v[54:55], -v[58:59]
	s_delay_alu instid0(VALU_DEP_2) | instskip(SKIP_1) | instid1(VALU_DEP_3)
	v_add_f64 v[2:3], v[0:1], v[58:59]
	v_add_f64 v[0:1], v[4:5], v[56:57]
	v_fma_f64 v[4:5], v[6:7], s[0:1], v[8:9]
	v_fma_f64 v[8:9], v[6:7], s[2:3], v[8:9]
	v_fma_f64 v[6:7], v[12:13], s[2:3], v[10:11]
	v_fma_f64 v[10:11], v[12:13], s[0:1], v[10:11]
	ds_store_b128 v173, v[0:3]
	ds_store_b128 v173, v[4:7] offset:352
	ds_store_b128 v173, v[8:11] offset:704
	s_waitcnt lgkmcnt(0)
	s_barrier
	buffer_gl0_inv
	ds_load_b128 v[0:3], v120 offset:5280
	ds_load_b128 v[4:7], v120 offset:3520
	scratch_load_b128 v[10:13], off, off offset:356 ; 16-byte Folded Reload
	s_mov_b32 s0, 0x4755a5e
	s_mov_b32 s1, 0xbfe2cf23
	s_mov_b32 s3, 0x3fe2cf23
	s_mov_b32 s2, s0
	s_waitcnt vmcnt(0) lgkmcnt(1)
	v_mul_f64 v[8:9], v[12:13], v[2:3]
	s_delay_alu instid0(VALU_DEP_1) | instskip(SKIP_1) | instid1(VALU_DEP_1)
	v_fma_f64 v[24:25], v[10:11], v[0:1], v[8:9]
	v_mul_f64 v[0:1], v[12:13], v[0:1]
	v_fma_f64 v[26:27], v[10:11], v[2:3], -v[0:1]
	ds_load_b128 v[0:3], v120 offset:10560
	ds_load_b128 v[8:11], v120 offset:12320
	scratch_load_b128 v[14:17], off, off offset:340 ; 16-byte Folded Reload
	s_waitcnt vmcnt(0) lgkmcnt(1)
	v_mul_f64 v[12:13], v[16:17], v[2:3]
	s_delay_alu instid0(VALU_DEP_1) | instskip(SKIP_1) | instid1(VALU_DEP_1)
	v_fma_f64 v[28:29], v[14:15], v[0:1], v[12:13]
	v_mul_f64 v[0:1], v[16:17], v[0:1]
	v_fma_f64 v[30:31], v[14:15], v[2:3], -v[0:1]
	ds_load_b128 v[0:3], v120 offset:21120
	ds_load_b128 v[12:15], v120 offset:22880
	scratch_load_b128 v[18:21], off, off offset:532 ; 16-byte Folded Reload
	s_waitcnt vmcnt(0) lgkmcnt(1)
	v_mul_f64 v[16:17], v[20:21], v[2:3]
	s_delay_alu instid0(VALU_DEP_1) | instskip(SKIP_1) | instid1(VALU_DEP_2)
	v_fma_f64 v[32:33], v[18:19], v[0:1], v[16:17]
	v_mul_f64 v[0:1], v[20:21], v[0:1]
	v_add_f64 v[78:79], v[24:25], -v[32:33]
	s_delay_alu instid0(VALU_DEP_2)
	v_fma_f64 v[34:35], v[18:19], v[2:3], -v[0:1]
	ds_load_b128 v[0:3], v120 offset:15840
	ds_load_b128 v[16:19], v120 offset:14080
	scratch_load_b128 v[38:41], off, off offset:516 ; 16-byte Folded Reload
	v_add_f64 v[74:75], v[26:27], -v[34:35]
	s_waitcnt vmcnt(0) lgkmcnt(1)
	v_mul_f64 v[20:21], v[40:41], v[2:3]
	s_delay_alu instid0(VALU_DEP_1) | instskip(SKIP_1) | instid1(VALU_DEP_2)
	v_fma_f64 v[36:37], v[38:39], v[0:1], v[20:21]
	v_mul_f64 v[0:1], v[40:41], v[0:1]
	v_add_f64 v[76:77], v[28:29], -v[36:37]
	s_delay_alu instid0(VALU_DEP_2)
	v_fma_f64 v[38:39], v[38:39], v[2:3], -v[0:1]
	ds_load_b128 v[0:3], v120 offset:7040
	ds_load_b128 v[20:23], v120 offset:8800
	s_clause 0x1
	scratch_load_b128 v[42:45], off, off offset:580
	scratch_load_b128 v[46:49], off, off offset:548
	v_add_f64 v[72:73], v[30:31], -v[38:39]
	s_waitcnt vmcnt(1) lgkmcnt(1)
	v_mul_f64 v[40:41], v[44:45], v[2:3]
	s_delay_alu instid0(VALU_DEP_1) | instskip(SKIP_1) | instid1(VALU_DEP_1)
	v_fma_f64 v[40:41], v[42:43], v[0:1], v[40:41]
	v_mul_f64 v[0:1], v[44:45], v[0:1]
	v_fma_f64 v[42:43], v[42:43], v[2:3], -v[0:1]
	s_waitcnt vmcnt(0)
	v_mul_f64 v[0:1], v[48:49], v[10:11]
	s_delay_alu instid0(VALU_DEP_1) | instskip(SKIP_1) | instid1(VALU_DEP_1)
	v_fma_f64 v[44:45], v[46:47], v[8:9], v[0:1]
	v_mul_f64 v[0:1], v[48:49], v[8:9]
	v_fma_f64 v[46:47], v[46:47], v[10:11], -v[0:1]
	ds_load_b128 v[0:3], v120 offset:17600
	ds_load_b128 v[8:11], v120 offset:19360
	scratch_load_b128 v[54:57], off, off offset:564 ; 16-byte Folded Reload
	s_waitcnt lgkmcnt(1)
	v_mul_f64 v[48:49], v[178:179], v[2:3]
	s_delay_alu instid0(VALU_DEP_1) | instskip(SKIP_1) | instid1(VALU_DEP_1)
	v_fma_f64 v[48:49], v[176:177], v[0:1], v[48:49]
	v_mul_f64 v[0:1], v[178:179], v[0:1]
	v_fma_f64 v[50:51], v[176:177], v[2:3], -v[0:1]
	s_waitcnt vmcnt(0)
	v_mul_f64 v[0:1], v[56:57], v[14:15]
	s_delay_alu instid0(VALU_DEP_1) | instskip(SKIP_2) | instid1(VALU_DEP_2)
	v_fma_f64 v[52:53], v[54:55], v[12:13], v[0:1]
	v_mul_f64 v[0:1], v[56:57], v[12:13]
	v_add_f64 v[12:13], v[24:25], v[32:33]
	v_fma_f64 v[54:55], v[54:55], v[14:15], -v[0:1]
	v_mul_f64 v[0:1], v[190:191], v[22:23]
	s_delay_alu instid0(VALU_DEP_1) | instskip(SKIP_1) | instid1(VALU_DEP_1)
	v_fma_f64 v[56:57], v[188:189], v[20:21], v[0:1]
	v_mul_f64 v[0:1], v[190:191], v[20:21]
	v_fma_f64 v[58:59], v[188:189], v[22:23], -v[0:1]
	v_mul_f64 v[0:1], v[182:183], v[18:19]
	s_delay_alu instid0(VALU_DEP_1) | instskip(SKIP_1) | instid1(VALU_DEP_1)
	v_fma_f64 v[60:61], v[180:181], v[16:17], v[0:1]
	v_mul_f64 v[0:1], v[182:183], v[16:17]
	v_fma_f64 v[62:63], v[180:181], v[18:19], -v[0:1]
	s_waitcnt lgkmcnt(0)
	v_mul_f64 v[0:1], v[194:195], v[10:11]
	s_delay_alu instid0(VALU_DEP_1) | instskip(SKIP_1) | instid1(VALU_DEP_1)
	v_fma_f64 v[64:65], v[192:193], v[8:9], v[0:1]
	v_mul_f64 v[0:1], v[194:195], v[8:9]
	v_fma_f64 v[66:67], v[192:193], v[10:11], -v[0:1]
	ds_load_b128 v[0:3], v120 offset:24640
	s_waitcnt lgkmcnt(0)
	v_mul_f64 v[8:9], v[186:187], v[2:3]
	s_delay_alu instid0(VALU_DEP_1) | instskip(SKIP_1) | instid1(VALU_DEP_1)
	v_fma_f64 v[68:69], v[184:185], v[0:1], v[8:9]
	v_mul_f64 v[0:1], v[186:187], v[0:1]
	v_fma_f64 v[70:71], v[184:185], v[2:3], -v[0:1]
	v_add_f64 v[0:1], v[28:29], -v[24:25]
	v_add_f64 v[2:3], v[36:37], -v[32:33]
	s_delay_alu instid0(VALU_DEP_1) | instskip(SKIP_2) | instid1(VALU_DEP_1)
	v_add_f64 v[16:17], v[0:1], v[2:3]
	v_add_f64 v[0:1], v[30:31], -v[26:27]
	v_add_f64 v[2:3], v[38:39], -v[34:35]
	v_add_f64 v[18:19], v[0:1], v[2:3]
	ds_load_b128 v[0:3], v120
	ds_load_b128 v[8:11], v120 offset:1760
	s_waitcnt lgkmcnt(0)
	s_barrier
	buffer_gl0_inv
	v_fma_f64 v[20:21], v[12:13], -0.5, v[0:1]
	v_add_f64 v[12:13], v[26:27], v[34:35]
	s_delay_alu instid0(VALU_DEP_1) | instskip(NEXT) | instid1(VALU_DEP_3)
	v_fma_f64 v[22:23], v[12:13], -0.5, v[2:3]
	v_fma_f64 v[12:13], v[72:73], s[12:13], v[20:21]
	v_fma_f64 v[20:21], v[72:73], s[8:9], v[20:21]
	s_delay_alu instid0(VALU_DEP_3) | instskip(SKIP_1) | instid1(VALU_DEP_4)
	v_fma_f64 v[14:15], v[76:77], s[8:9], v[22:23]
	v_fma_f64 v[22:23], v[76:77], s[12:13], v[22:23]
	;; [unrolled: 1-line block ×3, first 2 shown]
	s_delay_alu instid0(VALU_DEP_4) | instskip(NEXT) | instid1(VALU_DEP_4)
	v_fma_f64 v[20:21], v[74:75], s[2:3], v[20:21]
	v_fma_f64 v[14:15], v[78:79], s[2:3], v[14:15]
	s_delay_alu instid0(VALU_DEP_4) | instskip(NEXT) | instid1(VALU_DEP_4)
	v_fma_f64 v[22:23], v[78:79], s[0:1], v[22:23]
	v_fma_f64 v[12:13], v[16:17], s[14:15], v[12:13]
	s_delay_alu instid0(VALU_DEP_4) | instskip(SKIP_4) | instid1(VALU_DEP_4)
	v_fma_f64 v[16:17], v[16:17], s[14:15], v[20:21]
	v_add_f64 v[20:21], v[28:29], v[36:37]
	v_fma_f64 v[14:15], v[18:19], s[14:15], v[14:15]
	v_fma_f64 v[18:19], v[18:19], s[14:15], v[22:23]
	v_add_f64 v[22:23], v[30:31], v[38:39]
	v_fma_f64 v[20:21], v[20:21], -0.5, v[0:1]
	v_add_f64 v[0:1], v[0:1], v[24:25]
	v_add_f64 v[24:25], v[24:25], -v[28:29]
	s_delay_alu instid0(VALU_DEP_4) | instskip(SKIP_4) | instid1(VALU_DEP_4)
	v_fma_f64 v[22:23], v[22:23], -0.5, v[2:3]
	v_add_f64 v[2:3], v[2:3], v[26:27]
	v_add_f64 v[26:27], v[26:27], -v[30:31]
	v_add_f64 v[0:1], v[0:1], v[28:29]
	v_add_f64 v[28:29], v[32:33], -v[36:37]
	;; [unrolled: 2-line block ×3, first 2 shown]
	s_delay_alu instid0(VALU_DEP_4) | instskip(NEXT) | instid1(VALU_DEP_4)
	v_add_f64 v[0:1], v[0:1], v[36:37]
	v_add_f64 v[24:25], v[24:25], v[28:29]
	s_delay_alu instid0(VALU_DEP_4) | instskip(NEXT) | instid1(VALU_DEP_4)
	v_add_f64 v[2:3], v[2:3], v[38:39]
	v_add_f64 v[26:27], v[26:27], v[30:31]
	s_delay_alu instid0(VALU_DEP_4)
	v_add_f64 v[0:1], v[0:1], v[32:33]
	v_fma_f64 v[32:33], v[74:75], s[8:9], v[20:21]
	v_fma_f64 v[20:21], v[74:75], s[12:13], v[20:21]
	v_add_f64 v[2:3], v[2:3], v[34:35]
	v_fma_f64 v[34:35], v[78:79], s[12:13], v[22:23]
	v_fma_f64 v[22:23], v[78:79], s[8:9], v[22:23]
	;; [unrolled: 1-line block ×4, first 2 shown]
	s_delay_alu instid0(VALU_DEP_4) | instskip(NEXT) | instid1(VALU_DEP_4)
	v_fma_f64 v[32:33], v[76:77], s[2:3], v[34:35]
	v_fma_f64 v[34:35], v[76:77], s[0:1], v[22:23]
	s_delay_alu instid0(VALU_DEP_4) | instskip(NEXT) | instid1(VALU_DEP_4)
	v_fma_f64 v[20:21], v[24:25], s[14:15], v[28:29]
	v_fma_f64 v[24:25], v[24:25], s[14:15], v[30:31]
	v_add_f64 v[28:29], v[40:41], -v[44:45]
	v_add_f64 v[30:31], v[42:43], -v[46:47]
	v_fma_f64 v[22:23], v[26:27], s[14:15], v[32:33]
	v_fma_f64 v[26:27], v[26:27], s[14:15], v[34:35]
	ds_store_b128 v203, v[0:3]
	ds_store_b128 v203, v[20:23] offset:1056
	ds_store_b128 v203, v[12:15] offset:2112
	;; [unrolled: 1-line block ×4, first 2 shown]
	v_add_f64 v[0:1], v[44:45], -v[40:41]
	v_add_f64 v[2:3], v[48:49], -v[52:53]
	v_add_f64 v[20:21], v[46:47], -v[50:51]
	v_add_f64 v[24:25], v[44:45], -v[48:49]
	v_add_f64 v[22:23], v[42:43], -v[54:55]
	v_add_f64 v[26:27], v[40:41], -v[52:53]
	v_add_f64 v[32:33], v[52:53], -v[48:49]
	v_add_f64 v[34:35], v[54:55], -v[50:51]
	v_add_f64 v[12:13], v[0:1], v[2:3]
	v_add_f64 v[0:1], v[46:47], -v[42:43]
	v_add_f64 v[2:3], v[50:51], -v[54:55]
	s_delay_alu instid0(VALU_DEP_1) | instskip(SKIP_1) | instid1(VALU_DEP_1)
	v_add_f64 v[14:15], v[0:1], v[2:3]
	v_add_f64 v[0:1], v[40:41], v[52:53]
	v_fma_f64 v[16:17], v[0:1], -0.5, v[8:9]
	v_add_f64 v[0:1], v[42:43], v[54:55]
	s_delay_alu instid0(VALU_DEP_1) | instskip(NEXT) | instid1(VALU_DEP_3)
	v_fma_f64 v[18:19], v[0:1], -0.5, v[10:11]
	v_fma_f64 v[0:1], v[20:21], s[12:13], v[16:17]
	v_fma_f64 v[16:17], v[20:21], s[8:9], v[16:17]
	s_delay_alu instid0(VALU_DEP_3) | instskip(SKIP_1) | instid1(VALU_DEP_4)
	v_fma_f64 v[2:3], v[24:25], s[8:9], v[18:19]
	v_fma_f64 v[18:19], v[24:25], s[12:13], v[18:19]
	;; [unrolled: 1-line block ×3, first 2 shown]
	s_delay_alu instid0(VALU_DEP_4) | instskip(NEXT) | instid1(VALU_DEP_4)
	v_fma_f64 v[16:17], v[22:23], s[2:3], v[16:17]
	v_fma_f64 v[2:3], v[26:27], s[2:3], v[2:3]
	s_delay_alu instid0(VALU_DEP_4) | instskip(NEXT) | instid1(VALU_DEP_4)
	v_fma_f64 v[18:19], v[26:27], s[0:1], v[18:19]
	v_fma_f64 v[0:1], v[12:13], s[14:15], v[0:1]
	s_delay_alu instid0(VALU_DEP_4) | instskip(SKIP_4) | instid1(VALU_DEP_4)
	v_fma_f64 v[12:13], v[12:13], s[14:15], v[16:17]
	v_add_f64 v[16:17], v[44:45], v[48:49]
	v_fma_f64 v[2:3], v[14:15], s[14:15], v[2:3]
	v_fma_f64 v[14:15], v[14:15], s[14:15], v[18:19]
	v_add_f64 v[18:19], v[46:47], v[50:51]
	v_fma_f64 v[16:17], v[16:17], -0.5, v[8:9]
	v_add_f64 v[8:9], v[8:9], v[40:41]
	s_delay_alu instid0(VALU_DEP_3) | instskip(SKIP_1) | instid1(VALU_DEP_4)
	v_fma_f64 v[18:19], v[18:19], -0.5, v[10:11]
	v_add_f64 v[10:11], v[10:11], v[42:43]
	v_fma_f64 v[36:37], v[22:23], s[8:9], v[16:17]
	s_delay_alu instid0(VALU_DEP_4)
	v_add_f64 v[8:9], v[8:9], v[44:45]
	v_fma_f64 v[16:17], v[22:23], s[12:13], v[16:17]
	v_fma_f64 v[22:23], v[26:27], s[12:13], v[18:19]
	v_add_f64 v[10:11], v[10:11], v[46:47]
	v_fma_f64 v[18:19], v[26:27], s[8:9], v[18:19]
	v_add_f64 v[8:9], v[8:9], v[48:49]
	v_add_f64 v[26:27], v[28:29], v[32:33]
	;; [unrolled: 1-line block ×3, first 2 shown]
	v_fma_f64 v[30:31], v[20:21], s[0:1], v[36:37]
	v_fma_f64 v[20:21], v[20:21], s[2:3], v[16:17]
	;; [unrolled: 1-line block ×3, first 2 shown]
	v_add_f64 v[10:11], v[10:11], v[50:51]
	v_fma_f64 v[24:25], v[24:25], s[0:1], v[18:19]
	v_add_f64 v[8:9], v[8:9], v[52:53]
	v_fma_f64 v[16:17], v[26:27], s[14:15], v[30:31]
	v_fma_f64 v[20:21], v[26:27], s[14:15], v[20:21]
	v_add_f64 v[26:27], v[58:59], -v[62:63]
	v_add_f64 v[30:31], v[70:71], -v[66:67]
	v_fma_f64 v[18:19], v[28:29], s[14:15], v[22:23]
	v_add_f64 v[10:11], v[10:11], v[54:55]
	v_fma_f64 v[22:23], v[28:29], s[14:15], v[24:25]
	ds_store_b128 v201, v[8:11]
	ds_store_b128 v201, v[16:19] offset:1056
	ds_store_b128 v201, v[0:3] offset:2112
	;; [unrolled: 1-line block ×4, first 2 shown]
	v_add_f64 v[0:1], v[60:61], -v[56:57]
	v_add_f64 v[2:3], v[64:65], -v[68:69]
	;; [unrolled: 1-line block ×8, first 2 shown]
	v_add_f64 v[8:9], v[0:1], v[2:3]
	v_add_f64 v[0:1], v[62:63], -v[58:59]
	v_add_f64 v[2:3], v[66:67], -v[70:71]
	s_delay_alu instid0(VALU_DEP_1) | instskip(SKIP_1) | instid1(VALU_DEP_1)
	v_add_f64 v[10:11], v[0:1], v[2:3]
	v_add_f64 v[0:1], v[56:57], v[68:69]
	v_fma_f64 v[12:13], v[0:1], -0.5, v[4:5]
	v_add_f64 v[0:1], v[58:59], v[70:71]
	s_delay_alu instid0(VALU_DEP_1) | instskip(NEXT) | instid1(VALU_DEP_3)
	v_fma_f64 v[14:15], v[0:1], -0.5, v[6:7]
	v_fma_f64 v[0:1], v[16:17], s[12:13], v[12:13]
	v_fma_f64 v[12:13], v[16:17], s[8:9], v[12:13]
	s_delay_alu instid0(VALU_DEP_3) | instskip(SKIP_1) | instid1(VALU_DEP_4)
	v_fma_f64 v[2:3], v[20:21], s[8:9], v[14:15]
	v_fma_f64 v[14:15], v[20:21], s[12:13], v[14:15]
	;; [unrolled: 1-line block ×3, first 2 shown]
	s_delay_alu instid0(VALU_DEP_4) | instskip(NEXT) | instid1(VALU_DEP_4)
	v_fma_f64 v[12:13], v[18:19], s[2:3], v[12:13]
	v_fma_f64 v[2:3], v[22:23], s[2:3], v[2:3]
	s_delay_alu instid0(VALU_DEP_4) | instskip(NEXT) | instid1(VALU_DEP_4)
	v_fma_f64 v[14:15], v[22:23], s[0:1], v[14:15]
	v_fma_f64 v[0:1], v[8:9], s[14:15], v[0:1]
	s_delay_alu instid0(VALU_DEP_4) | instskip(SKIP_4) | instid1(VALU_DEP_4)
	v_fma_f64 v[8:9], v[8:9], s[14:15], v[12:13]
	v_add_f64 v[12:13], v[60:61], v[64:65]
	v_fma_f64 v[2:3], v[10:11], s[14:15], v[2:3]
	v_fma_f64 v[10:11], v[10:11], s[14:15], v[14:15]
	v_add_f64 v[14:15], v[62:63], v[66:67]
	v_fma_f64 v[12:13], v[12:13], -0.5, v[4:5]
	v_add_f64 v[4:5], v[4:5], v[56:57]
	s_delay_alu instid0(VALU_DEP_3) | instskip(SKIP_1) | instid1(VALU_DEP_4)
	v_fma_f64 v[14:15], v[14:15], -0.5, v[6:7]
	v_add_f64 v[6:7], v[6:7], v[58:59]
	v_fma_f64 v[32:33], v[18:19], s[8:9], v[12:13]
	s_delay_alu instid0(VALU_DEP_4)
	v_add_f64 v[4:5], v[4:5], v[60:61]
	v_fma_f64 v[12:13], v[18:19], s[12:13], v[12:13]
	v_fma_f64 v[18:19], v[22:23], s[12:13], v[14:15]
	v_add_f64 v[6:7], v[6:7], v[62:63]
	v_fma_f64 v[14:15], v[22:23], s[8:9], v[14:15]
	v_add_f64 v[4:5], v[4:5], v[64:65]
	v_add_f64 v[22:23], v[24:25], v[28:29]
	;; [unrolled: 1-line block ×3, first 2 shown]
	v_fma_f64 v[26:27], v[16:17], s[0:1], v[32:33]
	v_fma_f64 v[16:17], v[16:17], s[2:3], v[12:13]
	;; [unrolled: 1-line block ×3, first 2 shown]
	v_add_f64 v[6:7], v[6:7], v[66:67]
	v_fma_f64 v[20:21], v[20:21], s[0:1], v[14:15]
	v_add_f64 v[4:5], v[4:5], v[68:69]
	v_fma_f64 v[12:13], v[22:23], s[14:15], v[26:27]
	v_fma_f64 v[16:17], v[22:23], s[14:15], v[16:17]
	;; [unrolled: 1-line block ×3, first 2 shown]
	v_add_f64 v[6:7], v[6:7], v[70:71]
	v_fma_f64 v[18:19], v[24:25], s[14:15], v[20:21]
	ds_store_b128 v172, v[4:7]
	ds_store_b128 v172, v[12:15] offset:1056
	ds_store_b128 v172, v[0:3] offset:2112
	;; [unrolled: 1-line block ×4, first 2 shown]
	s_waitcnt lgkmcnt(0)
	s_barrier
	buffer_gl0_inv
	ds_load_b128 v[0:3], v120 offset:5280
	ds_load_b128 v[4:7], v120 offset:3520
	s_waitcnt lgkmcnt(1)
	v_mul_f64 v[8:9], v[166:167], v[2:3]
	s_delay_alu instid0(VALU_DEP_1) | instskip(SKIP_1) | instid1(VALU_DEP_1)
	v_fma_f64 v[24:25], v[164:165], v[0:1], v[8:9]
	v_mul_f64 v[0:1], v[166:167], v[0:1]
	v_fma_f64 v[26:27], v[164:165], v[2:3], -v[0:1]
	ds_load_b128 v[0:3], v120 offset:10560
	ds_load_b128 v[8:11], v120 offset:12320
	s_waitcnt lgkmcnt(1)
	v_mul_f64 v[12:13], v[210:211], v[2:3]
	s_delay_alu instid0(VALU_DEP_1) | instskip(SKIP_1) | instid1(VALU_DEP_1)
	v_fma_f64 v[28:29], v[208:209], v[0:1], v[12:13]
	v_mul_f64 v[0:1], v[210:211], v[0:1]
	v_fma_f64 v[30:31], v[208:209], v[2:3], -v[0:1]
	ds_load_b128 v[0:3], v120 offset:15840
	ds_load_b128 v[12:15], v120 offset:14080
	scratch_load_b128 v[18:21], off, off offset:596 ; 16-byte Folded Reload
	s_waitcnt vmcnt(0) lgkmcnt(1)
	v_mul_f64 v[16:17], v[20:21], v[2:3]
	s_delay_alu instid0(VALU_DEP_1) | instskip(SKIP_1) | instid1(VALU_DEP_2)
	v_fma_f64 v[32:33], v[18:19], v[0:1], v[16:17]
	v_mul_f64 v[0:1], v[20:21], v[0:1]
	v_add_f64 v[78:79], v[28:29], -v[32:33]
	s_delay_alu instid0(VALU_DEP_2)
	v_fma_f64 v[34:35], v[18:19], v[2:3], -v[0:1]
	ds_load_b128 v[0:3], v120 offset:21120
	ds_load_b128 v[16:19], v120 offset:22880
	s_waitcnt lgkmcnt(1)
	v_mul_f64 v[20:21], v[162:163], v[2:3]
	v_add_f64 v[74:75], v[30:31], -v[34:35]
	s_delay_alu instid0(VALU_DEP_2) | instskip(SKIP_1) | instid1(VALU_DEP_2)
	v_fma_f64 v[36:37], v[160:161], v[0:1], v[20:21]
	v_mul_f64 v[0:1], v[162:163], v[0:1]
	v_add_f64 v[76:77], v[24:25], -v[36:37]
	s_delay_alu instid0(VALU_DEP_2)
	v_fma_f64 v[38:39], v[160:161], v[2:3], -v[0:1]
	ds_load_b128 v[0:3], v120 offset:7040
	ds_load_b128 v[20:23], v120 offset:8800
	s_waitcnt lgkmcnt(1)
	v_mul_f64 v[40:41], v[218:219], v[2:3]
	v_add_f64 v[72:73], v[26:27], -v[38:39]
	s_delay_alu instid0(VALU_DEP_2) | instskip(SKIP_1) | instid1(VALU_DEP_1)
	v_fma_f64 v[40:41], v[216:217], v[0:1], v[40:41]
	v_mul_f64 v[0:1], v[218:219], v[0:1]
	v_fma_f64 v[42:43], v[216:217], v[2:3], -v[0:1]
	v_mul_f64 v[0:1], v[226:227], v[10:11]
	s_delay_alu instid0(VALU_DEP_1) | instskip(SKIP_1) | instid1(VALU_DEP_1)
	v_fma_f64 v[44:45], v[224:225], v[8:9], v[0:1]
	v_mul_f64 v[0:1], v[226:227], v[8:9]
	v_fma_f64 v[46:47], v[224:225], v[10:11], -v[0:1]
	ds_load_b128 v[0:3], v120 offset:17600
	ds_load_b128 v[8:11], v120 offset:19360
	s_waitcnt lgkmcnt(1)
	v_mul_f64 v[48:49], v[214:215], v[2:3]
	s_delay_alu instid0(VALU_DEP_1) | instskip(SKIP_1) | instid1(VALU_DEP_1)
	v_fma_f64 v[48:49], v[212:213], v[0:1], v[48:49]
	v_mul_f64 v[0:1], v[214:215], v[0:1]
	v_fma_f64 v[50:51], v[212:213], v[2:3], -v[0:1]
	v_mul_f64 v[0:1], v[206:207], v[18:19]
	s_delay_alu instid0(VALU_DEP_1) | instskip(SKIP_1) | instid1(VALU_DEP_1)
	v_fma_f64 v[52:53], v[204:205], v[16:17], v[0:1]
	v_mul_f64 v[0:1], v[206:207], v[16:17]
	v_fma_f64 v[54:55], v[204:205], v[18:19], -v[0:1]
	;; [unrolled: 5-line block ×3, first 2 shown]
	v_mul_f64 v[0:1], v[238:239], v[14:15]
	s_delay_alu instid0(VALU_DEP_1) | instskip(SKIP_2) | instid1(VALU_DEP_2)
	v_fma_f64 v[60:61], v[236:237], v[12:13], v[0:1]
	v_mul_f64 v[0:1], v[238:239], v[12:13]
	v_add_f64 v[12:13], v[28:29], v[32:33]
	v_fma_f64 v[62:63], v[236:237], v[14:15], -v[0:1]
	s_waitcnt lgkmcnt(0)
	v_mul_f64 v[0:1], v[230:231], v[10:11]
	s_delay_alu instid0(VALU_DEP_1) | instskip(SKIP_1) | instid1(VALU_DEP_1)
	v_fma_f64 v[64:65], v[228:229], v[8:9], v[0:1]
	v_mul_f64 v[0:1], v[230:231], v[8:9]
	v_fma_f64 v[66:67], v[228:229], v[10:11], -v[0:1]
	ds_load_b128 v[0:3], v120 offset:24640
	s_waitcnt lgkmcnt(0)
	v_mul_f64 v[8:9], v[222:223], v[2:3]
	s_delay_alu instid0(VALU_DEP_1) | instskip(SKIP_1) | instid1(VALU_DEP_1)
	v_fma_f64 v[68:69], v[220:221], v[0:1], v[8:9]
	v_mul_f64 v[0:1], v[222:223], v[0:1]
	v_fma_f64 v[70:71], v[220:221], v[2:3], -v[0:1]
	v_add_f64 v[0:1], v[24:25], -v[28:29]
	v_add_f64 v[2:3], v[36:37], -v[32:33]
	s_delay_alu instid0(VALU_DEP_1) | instskip(SKIP_2) | instid1(VALU_DEP_1)
	v_add_f64 v[16:17], v[0:1], v[2:3]
	v_add_f64 v[0:1], v[26:27], -v[30:31]
	v_add_f64 v[2:3], v[38:39], -v[34:35]
	v_add_f64 v[18:19], v[0:1], v[2:3]
	ds_load_b128 v[0:3], v120
	ds_load_b128 v[8:11], v120 offset:1760
	s_waitcnt lgkmcnt(1)
	v_fma_f64 v[20:21], v[12:13], -0.5, v[0:1]
	v_add_f64 v[12:13], v[30:31], v[34:35]
	s_delay_alu instid0(VALU_DEP_1) | instskip(NEXT) | instid1(VALU_DEP_3)
	v_fma_f64 v[22:23], v[12:13], -0.5, v[2:3]
	v_fma_f64 v[12:13], v[72:73], s[8:9], v[20:21]
	v_fma_f64 v[20:21], v[72:73], s[12:13], v[20:21]
	s_delay_alu instid0(VALU_DEP_3) | instskip(NEXT) | instid1(VALU_DEP_3)
	v_fma_f64 v[14:15], v[76:77], s[12:13], v[22:23]
	v_fma_f64 v[12:13], v[74:75], s[0:1], v[12:13]
	;; [unrolled: 1-line block ×3, first 2 shown]
	s_delay_alu instid0(VALU_DEP_4) | instskip(NEXT) | instid1(VALU_DEP_4)
	v_fma_f64 v[20:21], v[74:75], s[2:3], v[20:21]
	v_fma_f64 v[14:15], v[78:79], s[2:3], v[14:15]
	s_delay_alu instid0(VALU_DEP_4) | instskip(NEXT) | instid1(VALU_DEP_4)
	v_fma_f64 v[12:13], v[16:17], s[14:15], v[12:13]
	v_fma_f64 v[22:23], v[78:79], s[0:1], v[22:23]
	s_delay_alu instid0(VALU_DEP_4) | instskip(SKIP_2) | instid1(VALU_DEP_4)
	v_fma_f64 v[16:17], v[16:17], s[14:15], v[20:21]
	v_add_f64 v[20:21], v[24:25], v[36:37]
	v_fma_f64 v[14:15], v[18:19], s[14:15], v[14:15]
	v_fma_f64 v[18:19], v[18:19], s[14:15], v[22:23]
	v_add_f64 v[22:23], v[26:27], v[38:39]
	s_delay_alu instid0(VALU_DEP_4) | instskip(SKIP_2) | instid1(VALU_DEP_4)
	v_fma_f64 v[20:21], v[20:21], -0.5, v[0:1]
	v_add_f64 v[0:1], v[0:1], v[24:25]
	v_add_f64 v[24:25], v[28:29], -v[24:25]
	v_fma_f64 v[22:23], v[22:23], -0.5, v[2:3]
	v_add_f64 v[2:3], v[2:3], v[26:27]
	s_delay_alu instid0(VALU_DEP_4) | instskip(SKIP_2) | instid1(VALU_DEP_4)
	v_add_f64 v[0:1], v[0:1], v[28:29]
	v_add_f64 v[26:27], v[30:31], -v[26:27]
	v_add_f64 v[28:29], v[32:33], -v[36:37]
	v_add_f64 v[2:3], v[2:3], v[30:31]
	s_delay_alu instid0(VALU_DEP_4)
	v_add_f64 v[0:1], v[0:1], v[32:33]
	v_add_f64 v[30:31], v[34:35], -v[38:39]
	v_fma_f64 v[32:33], v[74:75], s[12:13], v[20:21]
	v_fma_f64 v[20:21], v[74:75], s[8:9], v[20:21]
	v_add_f64 v[24:25], v[24:25], v[28:29]
	v_add_f64 v[74:75], v[46:47], -v[50:51]
	v_add_f64 v[2:3], v[2:3], v[34:35]
	v_fma_f64 v[34:35], v[78:79], s[8:9], v[22:23]
	v_add_f64 v[26:27], v[26:27], v[30:31]
	v_fma_f64 v[28:29], v[72:73], s[0:1], v[32:33]
	v_fma_f64 v[30:31], v[72:73], s[2:3], v[20:21]
	;; [unrolled: 1-line block ×3, first 2 shown]
	v_add_f64 v[0:1], v[0:1], v[36:37]
	v_add_f64 v[72:73], v[42:43], -v[54:55]
	v_add_f64 v[78:79], v[44:45], -v[48:49]
	v_add_f64 v[2:3], v[2:3], v[38:39]
	v_fma_f64 v[32:33], v[76:77], s[2:3], v[34:35]
	v_fma_f64 v[20:21], v[24:25], s[14:15], v[28:29]
	;; [unrolled: 1-line block ×3, first 2 shown]
	v_add_f64 v[28:29], v[40:41], -v[44:45]
	v_add_f64 v[30:31], v[52:53], -v[48:49]
	v_fma_f64 v[34:35], v[76:77], s[0:1], v[22:23]
	v_add_f64 v[76:77], v[40:41], -v[52:53]
	v_fma_f64 v[22:23], v[26:27], s[14:15], v[32:33]
	s_delay_alu instid0(VALU_DEP_4) | instskip(SKIP_3) | instid1(VALU_DEP_2)
	v_add_f64 v[32:33], v[28:29], v[30:31]
	v_add_f64 v[28:29], v[42:43], -v[46:47]
	v_add_f64 v[30:31], v[54:55], -v[50:51]
	v_fma_f64 v[26:27], v[26:27], s[14:15], v[34:35]
	v_add_f64 v[34:35], v[28:29], v[30:31]
	v_add_f64 v[28:29], v[44:45], v[48:49]
	s_waitcnt lgkmcnt(0)
	s_delay_alu instid0(VALU_DEP_1) | instskip(SKIP_1) | instid1(VALU_DEP_1)
	v_fma_f64 v[36:37], v[28:29], -0.5, v[8:9]
	v_add_f64 v[28:29], v[46:47], v[50:51]
	v_fma_f64 v[38:39], v[28:29], -0.5, v[10:11]
	s_delay_alu instid0(VALU_DEP_3) | instskip(SKIP_1) | instid1(VALU_DEP_3)
	v_fma_f64 v[28:29], v[72:73], s[8:9], v[36:37]
	v_fma_f64 v[36:37], v[72:73], s[12:13], v[36:37]
	;; [unrolled: 1-line block ×3, first 2 shown]
	s_delay_alu instid0(VALU_DEP_3) | instskip(SKIP_1) | instid1(VALU_DEP_4)
	v_fma_f64 v[28:29], v[74:75], s[0:1], v[28:29]
	v_fma_f64 v[38:39], v[76:77], s[8:9], v[38:39]
	v_fma_f64 v[36:37], v[74:75], s[2:3], v[36:37]
	s_delay_alu instid0(VALU_DEP_4) | instskip(NEXT) | instid1(VALU_DEP_4)
	v_fma_f64 v[30:31], v[78:79], s[2:3], v[30:31]
	v_fma_f64 v[28:29], v[32:33], s[14:15], v[28:29]
	s_delay_alu instid0(VALU_DEP_4) | instskip(NEXT) | instid1(VALU_DEP_4)
	v_fma_f64 v[38:39], v[78:79], s[0:1], v[38:39]
	v_fma_f64 v[32:33], v[32:33], s[14:15], v[36:37]
	v_add_f64 v[36:37], v[40:41], v[52:53]
	v_fma_f64 v[30:31], v[34:35], s[14:15], v[30:31]
	s_delay_alu instid0(VALU_DEP_4) | instskip(SKIP_1) | instid1(VALU_DEP_4)
	v_fma_f64 v[34:35], v[34:35], s[14:15], v[38:39]
	v_add_f64 v[38:39], v[42:43], v[54:55]
	v_fma_f64 v[36:37], v[36:37], -0.5, v[8:9]
	v_add_f64 v[8:9], v[8:9], v[40:41]
	v_add_f64 v[40:41], v[44:45], -v[40:41]
	s_delay_alu instid0(VALU_DEP_4) | instskip(SKIP_1) | instid1(VALU_DEP_4)
	v_fma_f64 v[38:39], v[38:39], -0.5, v[10:11]
	v_add_f64 v[10:11], v[10:11], v[42:43]
	v_add_f64 v[8:9], v[8:9], v[44:45]
	v_add_f64 v[42:43], v[46:47], -v[42:43]
	v_add_f64 v[44:45], v[48:49], -v[52:53]
	s_delay_alu instid0(VALU_DEP_4) | instskip(NEXT) | instid1(VALU_DEP_4)
	v_add_f64 v[10:11], v[10:11], v[46:47]
	v_add_f64 v[8:9], v[8:9], v[48:49]
	v_add_f64 v[46:47], v[50:51], -v[54:55]
	v_fma_f64 v[48:49], v[74:75], s[12:13], v[36:37]
	v_fma_f64 v[36:37], v[74:75], s[8:9], v[36:37]
	v_add_f64 v[40:41], v[40:41], v[44:45]
	v_add_f64 v[74:75], v[58:59], -v[70:71]
	v_add_f64 v[10:11], v[10:11], v[50:51]
	v_fma_f64 v[50:51], v[78:79], s[8:9], v[38:39]
	v_add_f64 v[42:43], v[42:43], v[46:47]
	v_fma_f64 v[44:45], v[72:73], s[0:1], v[48:49]
	v_fma_f64 v[46:47], v[72:73], s[2:3], v[36:37]
	;; [unrolled: 1-line block ×3, first 2 shown]
	v_add_f64 v[8:9], v[8:9], v[52:53]
	v_add_f64 v[72:73], v[62:63], -v[66:67]
	v_add_f64 v[78:79], v[56:57], -v[68:69]
	v_add_f64 v[10:11], v[10:11], v[54:55]
	v_fma_f64 v[48:49], v[76:77], s[2:3], v[50:51]
	v_fma_f64 v[36:37], v[40:41], s[14:15], v[44:45]
	v_fma_f64 v[40:41], v[40:41], s[14:15], v[46:47]
	v_add_f64 v[44:45], v[60:61], -v[56:57]
	v_add_f64 v[46:47], v[64:65], -v[68:69]
	v_fma_f64 v[50:51], v[76:77], s[0:1], v[38:39]
	v_add_f64 v[76:77], v[60:61], -v[64:65]
	v_fma_f64 v[38:39], v[42:43], s[14:15], v[48:49]
	s_delay_alu instid0(VALU_DEP_4) | instskip(SKIP_3) | instid1(VALU_DEP_2)
	v_add_f64 v[48:49], v[44:45], v[46:47]
	v_add_f64 v[44:45], v[62:63], -v[58:59]
	v_add_f64 v[46:47], v[66:67], -v[70:71]
	v_fma_f64 v[42:43], v[42:43], s[14:15], v[50:51]
	v_add_f64 v[50:51], v[44:45], v[46:47]
	v_add_f64 v[44:45], v[56:57], v[68:69]
	s_delay_alu instid0(VALU_DEP_1) | instskip(SKIP_1) | instid1(VALU_DEP_1)
	v_fma_f64 v[52:53], v[44:45], -0.5, v[4:5]
	v_add_f64 v[44:45], v[58:59], v[70:71]
	v_fma_f64 v[54:55], v[44:45], -0.5, v[6:7]
	s_delay_alu instid0(VALU_DEP_3) | instskip(SKIP_1) | instid1(VALU_DEP_3)
	v_fma_f64 v[44:45], v[72:73], s[12:13], v[52:53]
	v_fma_f64 v[52:53], v[72:73], s[8:9], v[52:53]
	;; [unrolled: 1-line block ×4, first 2 shown]
	s_delay_alu instid0(VALU_DEP_4) | instskip(NEXT) | instid1(VALU_DEP_4)
	v_fma_f64 v[44:45], v[74:75], s[0:1], v[44:45]
	v_fma_f64 v[52:53], v[74:75], s[2:3], v[52:53]
	s_delay_alu instid0(VALU_DEP_4) | instskip(NEXT) | instid1(VALU_DEP_4)
	v_fma_f64 v[46:47], v[78:79], s[2:3], v[46:47]
	v_fma_f64 v[54:55], v[78:79], s[0:1], v[54:55]
	;; [unrolled: 3-line block ×3, first 2 shown]
	v_add_f64 v[52:53], v[60:61], v[64:65]
	v_fma_f64 v[46:47], v[50:51], s[14:15], v[46:47]
	v_fma_f64 v[50:51], v[50:51], s[14:15], v[54:55]
	v_add_f64 v[54:55], v[62:63], v[66:67]
	s_delay_alu instid0(VALU_DEP_4) | instskip(SKIP_2) | instid1(VALU_DEP_4)
	v_fma_f64 v[52:53], v[52:53], -0.5, v[4:5]
	v_add_f64 v[4:5], v[4:5], v[56:57]
	v_add_f64 v[56:57], v[56:57], -v[60:61]
	v_fma_f64 v[54:55], v[54:55], -0.5, v[6:7]
	v_add_f64 v[6:7], v[6:7], v[58:59]
	v_add_f64 v[58:59], v[58:59], -v[62:63]
	v_add_f64 v[4:5], v[4:5], v[60:61]
	v_add_f64 v[60:61], v[68:69], -v[64:65]
	s_delay_alu instid0(VALU_DEP_4) | instskip(SKIP_1) | instid1(VALU_DEP_4)
	v_add_f64 v[6:7], v[6:7], v[62:63]
	v_add_f64 v[62:63], v[70:71], -v[66:67]
	v_add_f64 v[4:5], v[4:5], v[64:65]
	v_fma_f64 v[64:65], v[74:75], s[8:9], v[52:53]
	v_fma_f64 v[52:53], v[74:75], s[12:13], v[52:53]
	v_add_f64 v[56:57], v[56:57], v[60:61]
	v_add_f64 v[6:7], v[6:7], v[66:67]
	v_fma_f64 v[66:67], v[78:79], s[12:13], v[54:55]
	v_fma_f64 v[54:55], v[78:79], s[8:9], v[54:55]
	v_add_f64 v[58:59], v[58:59], v[62:63]
	v_fma_f64 v[60:61], v[72:73], s[0:1], v[64:65]
	v_fma_f64 v[62:63], v[72:73], s[2:3], v[52:53]
	v_add_f64 v[4:5], v[4:5], v[68:69]
	v_add_f64 v[6:7], v[6:7], v[70:71]
	v_fma_f64 v[64:65], v[76:77], s[2:3], v[66:67]
	v_fma_f64 v[66:67], v[76:77], s[0:1], v[54:55]
	s_mul_i32 s1, s5, 0x96
	v_fma_f64 v[52:53], v[56:57], s[14:15], v[60:61]
	v_fma_f64 v[56:57], v[56:57], s[14:15], v[62:63]
	s_mul_hi_u32 s3, s4, 0x96
	s_mul_i32 s2, s4, 0x96
	s_add_i32 s3, s3, s1
	s_delay_alu instid0(SALU_CYCLE_1) | instskip(NEXT) | instid1(VALU_DEP_4)
	s_lshl_b64 s[2:3], s[2:3], 4
	v_fma_f64 v[54:55], v[58:59], s[14:15], v[64:65]
	s_delay_alu instid0(VALU_DEP_4)
	v_fma_f64 v[58:59], v[58:59], s[14:15], v[66:67]
	ds_store_b128 v120, v[0:3]
	ds_store_b128 v120, v[8:11] offset:1760
	ds_store_b128 v120, v[20:23] offset:10560
	;; [unrolled: 1-line block ×14, first 2 shown]
	s_waitcnt lgkmcnt(0)
	s_barrier
	buffer_gl0_inv
	ds_load_b128 v[0:3], v120
	ds_load_b128 v[4:7], v120 offset:2400
	s_clause 0x9
	scratch_load_b128 v[20:23], off, off offset:132
	scratch_load_b128 v[24:27], off, off offset:148
	;; [unrolled: 1-line block ×10, first 2 shown]
	ds_load_b128 v[8:11], v120 offset:4800
	scratch_load_b32 v59, off, off offset:128 ; 4-byte Folded Reload
	s_waitcnt vmcnt(10) lgkmcnt(2)
	v_mul_f64 v[12:13], v[22:23], v[2:3]
	v_mul_f64 v[14:15], v[22:23], v[0:1]
	s_waitcnt vmcnt(9) lgkmcnt(1)
	v_mul_f64 v[16:17], v[26:27], v[6:7]
	v_mul_f64 v[18:19], v[26:27], v[4:5]
	s_delay_alu instid0(VALU_DEP_4) | instskip(NEXT) | instid1(VALU_DEP_4)
	v_fma_f64 v[12:13], v[20:21], v[0:1], v[12:13]
	v_fma_f64 v[14:15], v[20:21], v[2:3], -v[14:15]
	ds_load_b128 v[0:3], v120 offset:7200
	s_waitcnt vmcnt(8) lgkmcnt(1)
	v_mul_f64 v[20:21], v[30:31], v[10:11]
	v_mul_f64 v[22:23], v[30:31], v[8:9]
	v_fma_f64 v[16:17], v[24:25], v[4:5], v[16:17]
	v_fma_f64 v[18:19], v[24:25], v[6:7], -v[18:19]
	ds_load_b128 v[4:7], v120 offset:9600
	s_waitcnt vmcnt(6) lgkmcnt(1)
	v_mul_f64 v[24:25], v[34:35], v[2:3]
	v_mul_f64 v[26:27], v[34:35], v[0:1]
	;; [unrolled: 6-line block ×6, first 2 shown]
	v_fma_f64 v[36:37], v[44:45], v[0:1], v[36:37]
	v_fma_f64 v[38:39], v[44:45], v[2:3], -v[38:39]
	ds_load_b128 v[0:3], v120 offset:21600
	s_waitcnt lgkmcnt(1)
	v_mul_f64 v[44:45], v[55:56], v[10:11]
	v_mul_f64 v[46:47], v[55:56], v[8:9]
	v_fma_f64 v[40:41], v[48:49], v[4:5], v[40:41]
	v_fma_f64 v[42:43], v[48:49], v[6:7], -v[42:43]
	scratch_load_b64 v[48:49], off, off offset:120 ; 8-byte Folded Reload
	ds_load_b128 v[4:7], v120 offset:24000
	v_fma_f64 v[44:45], v[53:54], v[8:9], v[44:45]
	v_fma_f64 v[46:47], v[53:54], v[10:11], -v[46:47]
	s_waitcnt lgkmcnt(1)
	v_mul_f64 v[8:9], v[62:63], v[2:3]
	v_mul_f64 v[10:11], v[62:63], v[0:1]
	scratch_load_b128 v[62:65], off, off offset:212 ; 16-byte Folded Reload
	v_fma_f64 v[0:1], v[60:61], v[0:1], v[8:9]
	s_waitcnt vmcnt(1)
	v_mov_b32_e32 v52, v48
	s_delay_alu instid0(VALU_DEP_1) | instskip(NEXT) | instid1(VALU_DEP_1)
	v_mad_u64_u32 v[48:49], null, s6, v52, 0
	v_mad_u64_u32 v[50:51], null, s7, v52, v[49:50]
	;; [unrolled: 1-line block ×3, first 2 shown]
	s_mov_b32 s6, 0x3dc013dc
	s_mov_b32 s7, 0x3f43dc01
	s_delay_alu instid0(SALU_CYCLE_1) | instskip(NEXT) | instid1(VALU_DEP_3)
	v_mul_f64 v[8:9], v[18:19], s[6:7]
	v_mov_b32_e32 v49, v50
	v_mul_f64 v[18:19], v[28:29], s[6:7]
	s_delay_alu instid0(VALU_DEP_4)
	v_mov_b32_e32 v50, v52
	s_waitcnt vmcnt(0) lgkmcnt(0)
	v_mul_f64 v[53:54], v[64:65], v[6:7]
	v_mul_f64 v[55:56], v[64:65], v[4:5]
	v_lshlrev_b64 v[48:49], 4, v[48:49]
	v_mul_f64 v[28:29], v[38:39], s[6:7]
	v_mad_u64_u32 v[57:58], null, s5, v59, v[50:51]
	v_mul_f64 v[38:39], v[0:1], s[6:7]
	s_delay_alu instid0(VALU_DEP_4) | instskip(NEXT) | instid1(VALU_DEP_1)
	v_add_co_u32 v48, s0, s10, v48
	v_add_co_ci_u32_e64 v49, s0, s11, v49, s0
	s_delay_alu instid0(VALU_DEP_4)
	v_mov_b32_e32 v52, v57
	v_fma_f64 v[57:58], v[60:61], v[2:3], -v[10:11]
	v_mul_f64 v[2:3], v[12:13], s[6:7]
	v_mul_f64 v[10:11], v[20:21], s[6:7]
	;; [unrolled: 1-line block ×3, first 2 shown]
	v_lshlrev_b64 v[50:51], 4, v[51:52]
	v_mul_f64 v[20:21], v[30:31], s[6:7]
	v_mul_f64 v[22:23], v[32:33], s[6:7]
	;; [unrolled: 1-line block ×4, first 2 shown]
	v_add_co_u32 v48, s0, v48, v50
	s_delay_alu instid0(VALU_DEP_1) | instskip(NEXT) | instid1(VALU_DEP_2)
	v_add_co_ci_u32_e64 v49, s0, v49, v51, s0
	v_add_co_u32 v50, s0, v48, s2
	s_delay_alu instid0(VALU_DEP_1) | instskip(NEXT) | instid1(VALU_DEP_2)
	v_add_co_ci_u32_e64 v51, s0, s3, v49, s0
	v_add_co_u32 v59, s0, v50, s2
	s_delay_alu instid0(VALU_DEP_1) | instskip(SKIP_2) | instid1(VALU_DEP_4)
	v_add_co_ci_u32_e64 v60, s0, s3, v51, s0
	v_fma_f64 v[52:53], v[62:63], v[4:5], v[53:54]
	v_fma_f64 v[54:55], v[62:63], v[6:7], -v[55:56]
	v_add_co_u32 v61, s0, v59, s2
	s_delay_alu instid0(VALU_DEP_1) | instskip(SKIP_1) | instid1(VALU_DEP_3)
	v_add_co_ci_u32_e64 v62, s0, s3, v60, s0
	v_mul_f64 v[4:5], v[14:15], s[6:7]
	v_add_co_u32 v63, s0, v61, s2
	v_mul_f64 v[6:7], v[16:17], s[6:7]
	s_delay_alu instid0(VALU_DEP_4)
	v_add_co_ci_u32_e64 v64, s0, s3, v62, s0
	v_mul_f64 v[14:15], v[24:25], s[6:7]
	v_mul_f64 v[16:17], v[26:27], s[6:7]
	;; [unrolled: 1-line block ×5, first 2 shown]
	v_add_co_u32 v46, s0, v63, s2
	v_mul_f64 v[34:35], v[44:45], s[6:7]
	v_add_co_ci_u32_e64 v47, s0, s3, v64, s0
	v_mul_f64 v[40:41], v[57:58], s[6:7]
	v_mul_f64 v[42:43], v[52:53], s[6:7]
	;; [unrolled: 1-line block ×3, first 2 shown]
	v_add_co_u32 v52, s0, v46, s2
	s_delay_alu instid0(VALU_DEP_1) | instskip(NEXT) | instid1(VALU_DEP_2)
	v_add_co_ci_u32_e64 v53, s0, s3, v47, s0
	v_add_co_u32 v54, s0, v52, s2
	s_delay_alu instid0(VALU_DEP_1) | instskip(NEXT) | instid1(VALU_DEP_2)
	v_add_co_ci_u32_e64 v55, s0, s3, v53, s0
	;; [unrolled: 3-line block ×4, first 2 shown]
	v_add_co_u32 v0, s0, v65, s2
	s_delay_alu instid0(VALU_DEP_1)
	v_add_co_ci_u32_e64 v1, s0, s3, v66, s0
	s_clause 0x4
	global_store_b128 v[48:49], v[2:5], off
	global_store_b128 v[50:51], v[6:9], off
	global_store_b128 v[59:60], v[10:13], off
	global_store_b128 v[61:62], v[14:17], off
	global_store_b128 v[63:64], v[18:21], off
	global_store_b128 v[46:47], v[22:25], off
	global_store_b128 v[52:53], v[26:29], off
	global_store_b128 v[54:55], v[30:33], off
	global_store_b128 v[56:57], v[34:37], off
	global_store_b128 v[65:66], v[38:41], off
	global_store_b128 v[0:1], v[42:45], off
	s_and_b32 exec_lo, exec_lo, vcc_lo
	s_cbranch_execz .LBB0_23
; %bb.22:
	global_load_b128 v[2:5], v[104:105], off offset:1760
	ds_load_b128 v[6:9], v120 offset:1760
	ds_load_b128 v[10:13], v120 offset:4160
	s_mul_i32 s0, s5, 0xffffa920
	s_delay_alu instid0(SALU_CYCLE_1) | instskip(SKIP_3) | instid1(VALU_DEP_2)
	s_sub_i32 s0, s0, s4
	s_waitcnt vmcnt(0) lgkmcnt(1)
	v_mul_f64 v[14:15], v[8:9], v[4:5]
	v_mul_f64 v[4:5], v[6:7], v[4:5]
	v_fma_f64 v[6:7], v[6:7], v[2:3], v[14:15]
	s_delay_alu instid0(VALU_DEP_2) | instskip(SKIP_4) | instid1(VALU_DEP_1)
	v_fma_f64 v[4:5], v[2:3], v[8:9], -v[4:5]
	scratch_load_b64 v[8:9], off, off offset:112 ; 8-byte Folded Reload
	v_mul_f64 v[2:3], v[6:7], s[6:7]
	v_mul_f64 v[4:5], v[4:5], s[6:7]
	v_mad_u64_u32 v[6:7], null, 0xffffa920, s4, v[0:1]
	v_add_nc_u32_e32 v7, s0, v7
	global_store_b128 v[6:7], v[2:5], off
	s_waitcnt vmcnt(0)
	global_load_b128 v[0:3], v[8:9], off offset:64
	s_waitcnt vmcnt(0) lgkmcnt(0)
	v_mul_f64 v[4:5], v[12:13], v[2:3]
	v_mul_f64 v[2:3], v[10:11], v[2:3]
	s_delay_alu instid0(VALU_DEP_2) | instskip(NEXT) | instid1(VALU_DEP_2)
	v_fma_f64 v[4:5], v[10:11], v[0:1], v[4:5]
	v_fma_f64 v[2:3], v[0:1], v[12:13], -v[2:3]
	v_add_co_u32 v12, vcc_lo, v6, s2
	v_add_co_ci_u32_e32 v13, vcc_lo, s3, v7, vcc_lo
	s_delay_alu instid0(VALU_DEP_4) | instskip(NEXT) | instid1(VALU_DEP_4)
	v_mul_f64 v[0:1], v[4:5], s[6:7]
	v_mul_f64 v[2:3], v[2:3], s[6:7]
	global_store_b128 v[12:13], v[0:3], off
	global_load_b128 v[0:3], v[8:9], off offset:2464
	ds_load_b128 v[4:7], v120 offset:6560
	ds_load_b128 v[8:11], v120 offset:8960
	s_waitcnt vmcnt(0) lgkmcnt(1)
	v_mul_f64 v[14:15], v[6:7], v[2:3]
	v_mul_f64 v[2:3], v[4:5], v[2:3]
	s_delay_alu instid0(VALU_DEP_2) | instskip(SKIP_4) | instid1(VALU_DEP_3)
	v_fma_f64 v[4:5], v[4:5], v[0:1], v[14:15]
	scratch_load_b64 v[14:15], off, off offset:104 ; 8-byte Folded Reload
	v_fma_f64 v[2:3], v[0:1], v[6:7], -v[2:3]
	v_mul_f64 v[0:1], v[4:5], s[6:7]
	v_add_co_u32 v4, vcc_lo, v12, s2
	v_mul_f64 v[2:3], v[2:3], s[6:7]
	v_add_co_ci_u32_e32 v5, vcc_lo, s3, v13, vcc_lo
	s_delay_alu instid0(VALU_DEP_3) | instskip(NEXT) | instid1(VALU_DEP_2)
	v_add_co_u32 v12, vcc_lo, v4, s2
	v_add_co_ci_u32_e32 v13, vcc_lo, s3, v5, vcc_lo
	global_store_b128 v[4:5], v[0:3], off
	s_waitcnt vmcnt(0)
	global_load_b128 v[0:3], v[14:15], off offset:768
	s_waitcnt vmcnt(0) lgkmcnt(0)
	v_mul_f64 v[6:7], v[10:11], v[2:3]
	v_mul_f64 v[2:3], v[8:9], v[2:3]
	s_delay_alu instid0(VALU_DEP_2) | instskip(NEXT) | instid1(VALU_DEP_2)
	v_fma_f64 v[6:7], v[8:9], v[0:1], v[6:7]
	v_fma_f64 v[2:3], v[0:1], v[10:11], -v[2:3]
	s_delay_alu instid0(VALU_DEP_2) | instskip(NEXT) | instid1(VALU_DEP_2)
	v_mul_f64 v[0:1], v[6:7], s[6:7]
	v_mul_f64 v[2:3], v[2:3], s[6:7]
	global_store_b128 v[12:13], v[0:3], off
	global_load_b128 v[0:3], v[14:15], off offset:3168
	ds_load_b128 v[4:7], v120 offset:11360
	ds_load_b128 v[8:11], v120 offset:13760
	s_waitcnt vmcnt(0) lgkmcnt(1)
	v_mul_f64 v[14:15], v[6:7], v[2:3]
	v_mul_f64 v[2:3], v[4:5], v[2:3]
	s_delay_alu instid0(VALU_DEP_2) | instskip(SKIP_4) | instid1(VALU_DEP_3)
	v_fma_f64 v[4:5], v[4:5], v[0:1], v[14:15]
	scratch_load_b64 v[14:15], off, off offset:96 ; 8-byte Folded Reload
	v_fma_f64 v[2:3], v[0:1], v[6:7], -v[2:3]
	v_mul_f64 v[0:1], v[4:5], s[6:7]
	v_add_co_u32 v4, vcc_lo, v12, s2
	v_mul_f64 v[2:3], v[2:3], s[6:7]
	v_add_co_ci_u32_e32 v5, vcc_lo, s3, v13, vcc_lo
	s_delay_alu instid0(VALU_DEP_3) | instskip(NEXT) | instid1(VALU_DEP_2)
	v_add_co_u32 v12, vcc_lo, v4, s2
	v_add_co_ci_u32_e32 v13, vcc_lo, s3, v5, vcc_lo
	global_store_b128 v[4:5], v[0:3], off
	s_waitcnt vmcnt(0)
	global_load_b128 v[0:3], v[14:15], off offset:1472
	s_waitcnt vmcnt(0) lgkmcnt(0)
	v_mul_f64 v[6:7], v[10:11], v[2:3]
	v_mul_f64 v[2:3], v[8:9], v[2:3]
	s_delay_alu instid0(VALU_DEP_2) | instskip(NEXT) | instid1(VALU_DEP_2)
	v_fma_f64 v[6:7], v[8:9], v[0:1], v[6:7]
	v_fma_f64 v[2:3], v[0:1], v[10:11], -v[2:3]
	s_delay_alu instid0(VALU_DEP_2) | instskip(NEXT) | instid1(VALU_DEP_2)
	v_mul_f64 v[0:1], v[6:7], s[6:7]
	v_mul_f64 v[2:3], v[2:3], s[6:7]
	global_store_b128 v[12:13], v[0:3], off
	global_load_b128 v[0:3], v[14:15], off offset:3872
	ds_load_b128 v[4:7], v120 offset:16160
	ds_load_b128 v[8:11], v120 offset:18560
	scratch_load_b64 v[16:17], off, off offset:80 ; 8-byte Folded Reload
	s_waitcnt vmcnt(1) lgkmcnt(1)
	v_mul_f64 v[14:15], v[6:7], v[2:3]
	v_mul_f64 v[2:3], v[4:5], v[2:3]
	s_delay_alu instid0(VALU_DEP_2) | instskip(NEXT) | instid1(VALU_DEP_2)
	v_fma_f64 v[4:5], v[4:5], v[0:1], v[14:15]
	v_fma_f64 v[2:3], v[0:1], v[6:7], -v[2:3]
	s_delay_alu instid0(VALU_DEP_2) | instskip(NEXT) | instid1(VALU_DEP_2)
	v_mul_f64 v[0:1], v[4:5], s[6:7]
	v_mul_f64 v[2:3], v[2:3], s[6:7]
	v_add_co_u32 v4, vcc_lo, v12, s2
	v_add_co_ci_u32_e32 v5, vcc_lo, s3, v13, vcc_lo
	s_delay_alu instid0(VALU_DEP_2) | instskip(NEXT) | instid1(VALU_DEP_2)
	v_add_co_u32 v12, vcc_lo, v4, s2
	v_add_co_ci_u32_e32 v13, vcc_lo, s3, v5, vcc_lo
	global_store_b128 v[4:5], v[0:3], off
	scratch_load_b64 v[0:1], off, off offset:88 ; 8-byte Folded Reload
	s_waitcnt vmcnt(0)
	global_load_b128 v[0:3], v[0:1], off offset:2176
	s_waitcnt vmcnt(0) lgkmcnt(0)
	v_mul_f64 v[6:7], v[10:11], v[2:3]
	v_mul_f64 v[2:3], v[8:9], v[2:3]
	s_delay_alu instid0(VALU_DEP_2) | instskip(NEXT) | instid1(VALU_DEP_2)
	v_fma_f64 v[6:7], v[8:9], v[0:1], v[6:7]
	v_fma_f64 v[2:3], v[0:1], v[10:11], -v[2:3]
	s_delay_alu instid0(VALU_DEP_2) | instskip(NEXT) | instid1(VALU_DEP_2)
	v_mul_f64 v[0:1], v[6:7], s[6:7]
	v_mul_f64 v[2:3], v[2:3], s[6:7]
	global_store_b128 v[12:13], v[0:3], off
	global_load_b128 v[0:3], v[16:17], off offset:480
	ds_load_b128 v[4:7], v120 offset:20960
	ds_load_b128 v[8:11], v120 offset:23360
	s_waitcnt vmcnt(0) lgkmcnt(1)
	v_mul_f64 v[14:15], v[6:7], v[2:3]
	v_mul_f64 v[2:3], v[4:5], v[2:3]
	s_delay_alu instid0(VALU_DEP_2) | instskip(NEXT) | instid1(VALU_DEP_2)
	v_fma_f64 v[4:5], v[4:5], v[0:1], v[14:15]
	v_fma_f64 v[2:3], v[0:1], v[6:7], -v[2:3]
	s_delay_alu instid0(VALU_DEP_2) | instskip(NEXT) | instid1(VALU_DEP_2)
	v_mul_f64 v[0:1], v[4:5], s[6:7]
	v_mul_f64 v[2:3], v[2:3], s[6:7]
	v_add_co_u32 v4, vcc_lo, v12, s2
	v_add_co_ci_u32_e32 v5, vcc_lo, s3, v13, vcc_lo
	global_store_b128 v[4:5], v[0:3], off
	global_load_b128 v[0:3], v[16:17], off offset:2880
	s_waitcnt vmcnt(0) lgkmcnt(0)
	v_mul_f64 v[6:7], v[10:11], v[2:3]
	v_mul_f64 v[2:3], v[8:9], v[2:3]
	s_delay_alu instid0(VALU_DEP_2) | instskip(NEXT) | instid1(VALU_DEP_2)
	v_fma_f64 v[6:7], v[8:9], v[0:1], v[6:7]
	v_fma_f64 v[2:3], v[0:1], v[10:11], -v[2:3]
	v_add_co_u32 v8, vcc_lo, v4, s2
	v_add_co_ci_u32_e32 v9, vcc_lo, s3, v5, vcc_lo
	s_delay_alu instid0(VALU_DEP_4) | instskip(NEXT) | instid1(VALU_DEP_4)
	v_mul_f64 v[0:1], v[6:7], s[6:7]
	v_mul_f64 v[2:3], v[2:3], s[6:7]
	ds_load_b128 v[4:7], v120 offset:25760
	global_store_b128 v[8:9], v[0:3], off
	global_load_b128 v[0:3], v[174:175], off offset:1184
	s_waitcnt vmcnt(0) lgkmcnt(0)
	v_mul_f64 v[10:11], v[6:7], v[2:3]
	v_mul_f64 v[2:3], v[4:5], v[2:3]
	s_delay_alu instid0(VALU_DEP_2) | instskip(NEXT) | instid1(VALU_DEP_2)
	v_fma_f64 v[4:5], v[4:5], v[0:1], v[10:11]
	v_fma_f64 v[2:3], v[0:1], v[6:7], -v[2:3]
	s_delay_alu instid0(VALU_DEP_2) | instskip(NEXT) | instid1(VALU_DEP_2)
	v_mul_f64 v[0:1], v[4:5], s[6:7]
	v_mul_f64 v[2:3], v[2:3], s[6:7]
	v_add_co_u32 v4, vcc_lo, v8, s2
	v_add_co_ci_u32_e32 v5, vcc_lo, s3, v9, vcc_lo
	global_store_b128 v[4:5], v[0:3], off
.LBB0_23:
	s_nop 0
	s_sendmsg sendmsg(MSG_DEALLOC_VGPRS)
	s_endpgm
	.section	.rodata,"a",@progbits
	.p2align	6, 0x0
	.amdhsa_kernel bluestein_single_fwd_len1650_dim1_dp_op_CI_CI
		.amdhsa_group_segment_fixed_size 26400
		.amdhsa_private_segment_fixed_size 620
		.amdhsa_kernarg_size 104
		.amdhsa_user_sgpr_count 15
		.amdhsa_user_sgpr_dispatch_ptr 0
		.amdhsa_user_sgpr_queue_ptr 0
		.amdhsa_user_sgpr_kernarg_segment_ptr 1
		.amdhsa_user_sgpr_dispatch_id 0
		.amdhsa_user_sgpr_private_segment_size 0
		.amdhsa_wavefront_size32 1
		.amdhsa_uses_dynamic_stack 0
		.amdhsa_enable_private_segment 1
		.amdhsa_system_sgpr_workgroup_id_x 1
		.amdhsa_system_sgpr_workgroup_id_y 0
		.amdhsa_system_sgpr_workgroup_id_z 0
		.amdhsa_system_sgpr_workgroup_info 0
		.amdhsa_system_vgpr_workitem_id 0
		.amdhsa_next_free_vgpr 256
		.amdhsa_next_free_sgpr 40
		.amdhsa_reserve_vcc 1
		.amdhsa_float_round_mode_32 0
		.amdhsa_float_round_mode_16_64 0
		.amdhsa_float_denorm_mode_32 3
		.amdhsa_float_denorm_mode_16_64 3
		.amdhsa_dx10_clamp 1
		.amdhsa_ieee_mode 1
		.amdhsa_fp16_overflow 0
		.amdhsa_workgroup_processor_mode 1
		.amdhsa_memory_ordered 1
		.amdhsa_forward_progress 0
		.amdhsa_shared_vgpr_count 0
		.amdhsa_exception_fp_ieee_invalid_op 0
		.amdhsa_exception_fp_denorm_src 0
		.amdhsa_exception_fp_ieee_div_zero 0
		.amdhsa_exception_fp_ieee_overflow 0
		.amdhsa_exception_fp_ieee_underflow 0
		.amdhsa_exception_fp_ieee_inexact 0
		.amdhsa_exception_int_div_zero 0
	.end_amdhsa_kernel
	.text
.Lfunc_end0:
	.size	bluestein_single_fwd_len1650_dim1_dp_op_CI_CI, .Lfunc_end0-bluestein_single_fwd_len1650_dim1_dp_op_CI_CI
                                        ; -- End function
	.section	.AMDGPU.csdata,"",@progbits
; Kernel info:
; codeLenInByte = 34472
; NumSgprs: 42
; NumVgprs: 256
; ScratchSize: 620
; MemoryBound: 0
; FloatMode: 240
; IeeeMode: 1
; LDSByteSize: 26400 bytes/workgroup (compile time only)
; SGPRBlocks: 5
; VGPRBlocks: 31
; NumSGPRsForWavesPerEU: 42
; NumVGPRsForWavesPerEU: 256
; Occupancy: 4
; WaveLimiterHint : 1
; COMPUTE_PGM_RSRC2:SCRATCH_EN: 1
; COMPUTE_PGM_RSRC2:USER_SGPR: 15
; COMPUTE_PGM_RSRC2:TRAP_HANDLER: 0
; COMPUTE_PGM_RSRC2:TGID_X_EN: 1
; COMPUTE_PGM_RSRC2:TGID_Y_EN: 0
; COMPUTE_PGM_RSRC2:TGID_Z_EN: 0
; COMPUTE_PGM_RSRC2:TIDIG_COMP_CNT: 0
	.text
	.p2alignl 7, 3214868480
	.fill 96, 4, 3214868480
	.type	__hip_cuid_f9ba06645a053a4f,@object ; @__hip_cuid_f9ba06645a053a4f
	.section	.bss,"aw",@nobits
	.globl	__hip_cuid_f9ba06645a053a4f
__hip_cuid_f9ba06645a053a4f:
	.byte	0                               ; 0x0
	.size	__hip_cuid_f9ba06645a053a4f, 1

	.ident	"AMD clang version 19.0.0git (https://github.com/RadeonOpenCompute/llvm-project roc-6.4.0 25133 c7fe45cf4b819c5991fe208aaa96edf142730f1d)"
	.section	".note.GNU-stack","",@progbits
	.addrsig
	.addrsig_sym __hip_cuid_f9ba06645a053a4f
	.amdgpu_metadata
---
amdhsa.kernels:
  - .args:
      - .actual_access:  read_only
        .address_space:  global
        .offset:         0
        .size:           8
        .value_kind:     global_buffer
      - .actual_access:  read_only
        .address_space:  global
        .offset:         8
        .size:           8
        .value_kind:     global_buffer
      - .actual_access:  read_only
        .address_space:  global
        .offset:         16
        .size:           8
        .value_kind:     global_buffer
      - .actual_access:  read_only
        .address_space:  global
        .offset:         24
        .size:           8
        .value_kind:     global_buffer
      - .actual_access:  read_only
        .address_space:  global
        .offset:         32
        .size:           8
        .value_kind:     global_buffer
      - .offset:         40
        .size:           8
        .value_kind:     by_value
      - .address_space:  global
        .offset:         48
        .size:           8
        .value_kind:     global_buffer
      - .address_space:  global
        .offset:         56
        .size:           8
        .value_kind:     global_buffer
      - .address_space:  global
        .offset:         64
        .size:           8
        .value_kind:     global_buffer
      - .address_space:  global
        .offset:         72
        .size:           8
        .value_kind:     global_buffer
      - .offset:         80
        .size:           4
        .value_kind:     by_value
      - .address_space:  global
        .offset:         88
        .size:           8
        .value_kind:     global_buffer
      - .address_space:  global
        .offset:         96
        .size:           8
        .value_kind:     global_buffer
    .group_segment_fixed_size: 26400
    .kernarg_segment_align: 8
    .kernarg_segment_size: 104
    .language:       OpenCL C
    .language_version:
      - 2
      - 0
    .max_flat_workgroup_size: 110
    .name:           bluestein_single_fwd_len1650_dim1_dp_op_CI_CI
    .private_segment_fixed_size: 620
    .sgpr_count:     42
    .sgpr_spill_count: 0
    .symbol:         bluestein_single_fwd_len1650_dim1_dp_op_CI_CI.kd
    .uniform_work_group_size: 1
    .uses_dynamic_stack: false
    .vgpr_count:     256
    .vgpr_spill_count: 174
    .wavefront_size: 32
    .workgroup_processor_mode: 1
amdhsa.target:   amdgcn-amd-amdhsa--gfx1100
amdhsa.version:
  - 1
  - 2
...

	.end_amdgpu_metadata
